;; amdgpu-corpus repo=ROCm/rocFFT kind=compiled arch=gfx950 opt=O3
	.text
	.amdgcn_target "amdgcn-amd-amdhsa--gfx950"
	.amdhsa_code_object_version 6
	.protected	bluestein_single_fwd_len154_dim1_sp_op_CI_CI ; -- Begin function bluestein_single_fwd_len154_dim1_sp_op_CI_CI
	.globl	bluestein_single_fwd_len154_dim1_sp_op_CI_CI
	.p2align	8
	.type	bluestein_single_fwd_len154_dim1_sp_op_CI_CI,@function
bluestein_single_fwd_len154_dim1_sp_op_CI_CI: ; @bluestein_single_fwd_len154_dim1_sp_op_CI_CI
; %bb.0:
	s_load_dwordx4 s[8:11], s[0:1], 0x28
	v_mul_u32_u24_e32 v1, 0xba3, v0
	v_lshrrev_b32_e32 v2, 16, v1
	v_mad_u64_u32 v[38:39], s[2:3], s2, 5, v[2:3]
	v_mov_b32_e32 v37, 0
	v_mov_b32_e32 v39, v37
	s_waitcnt lgkmcnt(0)
	v_cmp_gt_u64_e32 vcc, s[8:9], v[38:39]
	s_and_saveexec_b64 s[2:3], vcc
	s_cbranch_execz .LBB0_23
; %bb.1:
	v_mul_lo_u16_e32 v1, 22, v2
	s_mov_b32 s2, 0xcccccccd
	v_sub_u16_e32 v36, v0, v1
	v_mul_hi_u32 v0, v38, s2
	s_load_dwordx2 s[8:9], s[0:1], 0x0
	s_load_dwordx2 s[12:13], s[0:1], 0x38
	v_lshrrev_b32_e32 v0, 2, v0
	v_lshl_add_u32 v0, v0, 2, v0
	v_sub_u32_e32 v0, v38, v0
	v_mul_u32_u24_e32 v134, 0x9a, v0
	v_cmp_gt_u16_e32 vcc, 14, v36
	v_lshlrev_b32_e32 v39, 3, v36
	v_lshlrev_b32_e32 v135, 3, v134
	s_and_saveexec_b64 s[2:3], vcc
	s_cbranch_execz .LBB0_3
; %bb.2:
	s_load_dwordx2 s[4:5], s[0:1], 0x18
	v_mov_b32_e32 v0, s10
	v_mov_b32_e32 v1, s11
	;; [unrolled: 1-line block ×3, first 2 shown]
	v_or_b32_e32 v43, 0x70, v36
	s_waitcnt lgkmcnt(0)
	s_load_dwordx4 s[4:7], s[4:5], 0x0
	v_lshl_add_u32 v50, v36, 3, v135
	v_add_u32_e32 v51, v135, v39
	s_waitcnt lgkmcnt(0)
	v_mad_u64_u32 v[2:3], s[10:11], s6, v38, 0
	v_mad_u64_u32 v[4:5], s[10:11], s4, v36, 0
	v_mov_b32_e32 v6, v3
	v_mov_b32_e32 v8, v5
	v_mad_u64_u32 v[6:7], s[6:7], s7, v38, v[6:7]
	v_mov_b32_e32 v3, v6
	v_mad_u64_u32 v[6:7], s[6:7], s5, v36, v[8:9]
	v_mov_b32_e32 v5, v6
	v_lshl_add_u64 v[0:1], v[2:3], 3, v[0:1]
	v_lshl_add_u64 v[2:3], v[4:5], 3, v[0:1]
	global_load_dwordx2 v[4:5], v[2:3], off
	v_mad_u64_u32 v[2:3], s[6:7], s4, v46, v[2:3]
	s_mul_i32 s10, s5, 0x70
	v_add_u32_e32 v3, s10, v3
	v_mad_u64_u32 v[6:7], s[6:7], s4, v46, v[2:3]
	v_add_u32_e32 v7, s10, v7
	v_mad_u64_u32 v[8:9], s[6:7], s4, v46, v[6:7]
	v_add_u32_e32 v9, s10, v9
	v_mad_u64_u32 v[18:19], s[6:7], s4, v46, v[8:9]
	v_add_u32_e32 v19, s10, v19
	global_load_dwordx2 v[10:11], v39, s[8:9]
	global_load_dwordx2 v[12:13], v39, s[8:9] offset:112
	global_load_dwordx2 v[14:15], v39, s[8:9] offset:224
	;; [unrolled: 1-line block ×3, first 2 shown]
	global_load_dwordx2 v[20:21], v[2:3], off
	global_load_dwordx2 v[22:23], v[6:7], off
	;; [unrolled: 1-line block ×4, first 2 shown]
	v_mad_u64_u32 v[2:3], s[6:7], s4, v46, v[18:19]
	v_add_u32_e32 v3, s10, v3
	global_load_dwordx2 v[6:7], v[2:3], off
	v_mad_u64_u32 v[2:3], s[6:7], s4, v46, v[2:3]
	v_mad_u64_u32 v[40:41], s[6:7], s4, v43, 0
	v_add_u32_e32 v3, s10, v3
	global_load_dwordx2 v[18:19], v39, s[8:9] offset:448
	v_mov_b32_e32 v42, v41
	global_load_dwordx2 v[8:9], v[2:3], off
	v_mad_u64_u32 v[2:3], s[6:7], s4, v46, v[2:3]
	v_mad_u64_u32 v[42:43], s[6:7], s5, v43, v[42:43]
	v_add_u32_e32 v3, s10, v3
	v_mov_b32_e32 v41, v42
	global_load_dwordx2 v[28:29], v[2:3], off
	global_load_dwordx2 v[30:31], v39, s[8:9] offset:560
	global_load_dwordx2 v[32:33], v39, s[8:9] offset:672
	;; [unrolled: 1-line block ×3, first 2 shown]
	v_lshl_add_u64 v[0:1], v[40:41], 3, v[0:1]
	v_mov_b32_e32 v40, 0xe0
	global_load_dwordx2 v[0:1], v[0:1], off
	v_mad_u64_u32 v[2:3], s[6:7], s4, v40, v[2:3]
	global_load_dwordx2 v[40:41], v39, s[8:9] offset:896
	s_mulk_i32 s5, 0xe0
	v_add_u32_e32 v3, s5, v3
	global_load_dwordx2 v[42:43], v[2:3], off
	global_load_dwordx2 v[44:45], v39, s[8:9] offset:1008
	v_mad_u64_u32 v[2:3], s[4:5], s4, v46, v[2:3]
	v_add_u32_e32 v3, s10, v3
	global_load_dwordx2 v[46:47], v39, s[8:9] offset:1120
	global_load_dwordx2 v[48:49], v[2:3], off
	s_waitcnt vmcnt(20)
	v_mul_f32_e32 v2, v5, v11
	v_mul_f32_e32 v3, v4, v11
	v_fmac_f32_e32 v2, v4, v10
	v_fma_f32 v3, v5, v10, -v3
	ds_write_b64 v50, v[2:3]
	s_waitcnt vmcnt(16)
	v_mul_f32_e32 v2, v21, v13
	v_mul_f32_e32 v3, v20, v13
	s_waitcnt vmcnt(15)
	v_mul_f32_e32 v4, v23, v15
	v_mul_f32_e32 v5, v22, v15
	v_fmac_f32_e32 v2, v20, v12
	v_fma_f32 v3, v21, v12, -v3
	v_fmac_f32_e32 v4, v22, v14
	v_fma_f32 v5, v23, v14, -v5
	ds_write2_b64 v51, v[2:3], v[4:5] offset0:14 offset1:28
	s_waitcnt vmcnt(14)
	v_mul_f32_e32 v2, v25, v17
	v_mul_f32_e32 v3, v24, v17
	s_waitcnt vmcnt(11)
	v_mul_f32_e32 v4, v27, v19
	v_mul_f32_e32 v5, v26, v19
	v_fmac_f32_e32 v2, v24, v16
	v_fma_f32 v3, v25, v16, -v3
	v_fmac_f32_e32 v4, v26, v18
	v_fma_f32 v5, v27, v18, -v5
	ds_write2_b64 v51, v[2:3], v[4:5] offset0:42 offset1:56
	;; [unrolled: 11-line block ×3, first 2 shown]
	s_waitcnt vmcnt(4)
	v_mul_f32_e32 v4, v1, v41
	v_mul_f32_e32 v2, v29, v35
	v_mul_f32_e32 v3, v28, v35
	v_fmac_f32_e32 v4, v0, v40
	v_mul_f32_e32 v0, v0, v41
	v_fmac_f32_e32 v2, v28, v34
	v_fma_f32 v3, v29, v34, -v3
	v_fma_f32 v5, v1, v40, -v0
	ds_write2_b64 v51, v[2:3], v[4:5] offset0:98 offset1:112
	s_waitcnt vmcnt(2)
	v_mul_f32_e32 v0, v43, v45
	v_mul_f32_e32 v1, v42, v45
	s_waitcnt vmcnt(0)
	v_mul_f32_e32 v2, v49, v47
	v_mul_f32_e32 v3, v48, v47
	v_fmac_f32_e32 v0, v42, v44
	v_fma_f32 v1, v43, v44, -v1
	v_fmac_f32_e32 v2, v48, v46
	v_fma_f32 v3, v49, v46, -v3
	ds_write2_b64 v51, v[0:1], v[2:3] offset0:126 offset1:140
.LBB0_3:
	s_or_b64 exec, exec, s[2:3]
	s_load_dwordx2 s[2:3], s[0:1], 0x20
	s_load_dwordx2 s[10:11], s[0:1], 0x8
	v_mov_b64_e32 v[0:1], 0
	s_waitcnt lgkmcnt(0)
	s_barrier
	s_waitcnt lgkmcnt(0)
                                        ; implicit-def: $vgpr4
                                        ; implicit-def: $vgpr10
                                        ; implicit-def: $vgpr24
                                        ; implicit-def: $vgpr18
                                        ; implicit-def: $vgpr32
	s_and_saveexec_b64 s[0:1], vcc
	s_cbranch_execz .LBB0_5
; %bb.4:
	v_lshlrev_b32_e32 v0, 3, v36
	v_lshl_add_u32 v12, v134, 3, v0
	ds_read2_b64 v[0:3], v12 offset1:14
	ds_read2_b64 v[16:19], v12 offset0:28 offset1:42
	ds_read2_b64 v[8:11], v12 offset0:56 offset1:70
	;; [unrolled: 1-line block ×4, first 2 shown]
	ds_read_b64 v[32:33], v12 offset:1120
.LBB0_5:
	s_or_b64 exec, exec, s[0:1]
	s_waitcnt lgkmcnt(0)
	v_pk_add_f32 v[52:53], v[2:3], v[32:33] neg_lo:[0,1] neg_hi:[0,1]
	s_mov_b32 s26, 0xbf68dda4
	v_pk_add_f32 v[30:31], v[32:33], v[2:3]
	v_pk_add_f32 v[54:55], v[16:17], v[26:27] neg_lo:[0,1] neg_hi:[0,1]
	s_mov_b32 s0, 0x3ed4b147
	v_pk_mul_f32 v[12:13], v[52:53], s[26:27] op_sel:[1,0] op_sel_hi:[0,0]
	s_mov_b32 s18, 0xbf4178ce
	v_pk_add_f32 v[28:29], v[26:27], v[16:17]
	v_pk_fma_f32 v[44:45], v[30:31], s[0:1], v[12:13] op_sel_hi:[1,0,1]
	v_pk_fma_f32 v[46:47], v[30:31], s[0:1], v[12:13] op_sel_hi:[1,0,1] neg_lo:[0,0,1] neg_hi:[0,0,1]
	s_mov_b32 s14, 0xbf27a4f4
	v_pk_mul_f32 v[22:23], v[54:55], s[18:19] op_sel:[1,0] op_sel_hi:[0,0]
	v_mov_b32_e32 v12, v44
	v_mov_b32_e32 v13, v47
	s_mov_b32 s6, 0xbf7d64f0
	v_pk_fma_f32 v[62:63], v[28:29], s[14:15], v[22:23] op_sel_hi:[1,0,1]
	v_pk_fma_f32 v[64:65], v[28:29], s[14:15], v[22:23] op_sel_hi:[1,0,1] neg_lo:[0,0,1] neg_hi:[0,0,1]
	v_pk_add_f32 v[12:13], v[12:13], v[0:1]
	s_mov_b32 s4, 0xbe11bafb
	v_pk_mul_f32 v[14:15], v[52:53], s[6:7] op_sel:[1,0] op_sel_hi:[0,0]
	v_mov_b32_e32 v22, v62
	v_mov_b32_e32 v23, v65
	s_mov_b32 s20, 0x3e903f40
	v_pk_fma_f32 v[40:41], v[30:31], s[4:5], v[14:15] op_sel_hi:[1,0,1]
	v_pk_fma_f32 v[42:43], v[30:31], s[4:5], v[14:15] op_sel_hi:[1,0,1] neg_lo:[0,0,1] neg_hi:[0,0,1]
	v_pk_add_f32 v[12:13], v[22:23], v[12:13]
	s_mov_b32 s16, 0xbf75a155
	v_pk_mul_f32 v[22:23], v[54:55], s[20:21] op_sel:[1,0] op_sel_hi:[0,0]
	v_mov_b32_e32 v14, v40
	v_mov_b32_e32 v15, v43
	v_pk_fma_f32 v[58:59], v[28:29], s[16:17], v[22:23] op_sel_hi:[1,0,1]
	v_pk_fma_f32 v[60:61], v[28:29], s[16:17], v[22:23] op_sel_hi:[1,0,1] neg_lo:[0,0,1] neg_hi:[0,0,1]
	v_pk_add_f32 v[56:57], v[18:19], v[24:25] neg_lo:[0,1] neg_hi:[0,1]
	v_pk_add_f32 v[14:15], v[14:15], v[0:1]
	v_mov_b32_e32 v22, v58
	v_mov_b32_e32 v23, v61
	v_pk_add_f32 v[20:21], v[24:25], v[18:19]
	v_pk_add_f32 v[14:15], v[22:23], v[14:15]
	v_pk_mul_f32 v[22:23], v[56:57], s[20:21] op_sel:[1,0] op_sel_hi:[0,0]
	v_pk_fma_f32 v[70:71], v[20:21], s[16:17], v[22:23] op_sel_hi:[1,0,1]
	v_pk_fma_f32 v[72:73], v[20:21], s[16:17], v[22:23] op_sel_hi:[1,0,1] neg_lo:[0,0,1] neg_hi:[0,0,1]
	v_mov_b32_e32 v22, v70
	v_mov_b32_e32 v23, v73
	s_mov_b32 s20, 0x3f68dda4
	v_pk_add_f32 v[12:13], v[22:23], v[12:13]
	v_pk_mul_f32 v[22:23], v[56:57], s[20:21] op_sel:[1,0] op_sel_hi:[0,0]
	v_pk_fma_f32 v[66:67], v[20:21], s[0:1], v[22:23] op_sel_hi:[1,0,1]
	v_pk_fma_f32 v[68:69], v[20:21], s[0:1], v[22:23] op_sel_hi:[1,0,1] neg_lo:[0,0,1] neg_hi:[0,0,1]
	v_mov_b32_e32 v22, v66
	v_mov_b32_e32 v23, v69
	s_mov_b32 s30, 0x3f7d64f0
	v_pk_add_f32 v[90:91], v[8:9], v[6:7] neg_lo:[0,1] neg_hi:[0,1]
	v_pk_add_f32 v[14:15], v[22:23], v[14:15]
	v_pk_add_f32 v[34:35], v[6:7], v[8:9]
	v_pk_mul_f32 v[22:23], v[90:91], s[30:31] op_sel:[1,0] op_sel_hi:[0,0]
	v_pk_fma_f32 v[78:79], v[34:35], s[4:5], v[22:23] op_sel_hi:[1,0,1]
	v_pk_fma_f32 v[80:81], v[34:35], s[4:5], v[22:23] op_sel_hi:[1,0,1] neg_lo:[0,0,1] neg_hi:[0,0,1]
	v_mov_b32_e32 v22, v78
	v_mov_b32_e32 v23, v81
	s_mov_b32 s34, 0xbf0a6770
	v_pk_add_f32 v[12:13], v[22:23], v[12:13]
	s_mov_b32 s22, 0x3f575c64
	v_pk_mul_f32 v[22:23], v[90:91], s[34:35] op_sel:[1,0] op_sel_hi:[0,0]
	v_pk_fma_f32 v[74:75], v[34:35], s[22:23], v[22:23] op_sel_hi:[1,0,1]
	v_pk_fma_f32 v[76:77], v[34:35], s[22:23], v[22:23] op_sel_hi:[1,0,1] neg_lo:[0,0,1] neg_hi:[0,0,1]
	v_mov_b32_e32 v22, v74
	v_mov_b32_e32 v23, v77
	s_mov_b32 s24, 0x3f0a6770
	v_pk_add_f32 v[110:111], v[10:11], v[4:5] neg_lo:[0,1] neg_hi:[0,1]
	v_pk_add_f32 v[22:23], v[22:23], v[14:15]
	v_pk_add_f32 v[50:51], v[4:5], v[10:11]
	v_pk_mul_f32 v[14:15], v[110:111], s[24:25] op_sel:[1,0] op_sel_hi:[0,0]
	v_pk_fma_f32 v[86:87], v[50:51], s[22:23], v[14:15] op_sel_hi:[1,0,1]
	v_pk_fma_f32 v[88:89], v[50:51], s[22:23], v[14:15] op_sel_hi:[1,0,1] neg_lo:[0,0,1] neg_hi:[0,0,1]
	v_mov_b32_e32 v14, v86
	v_mov_b32_e32 v15, v89
	v_pk_add_f32 v[14:15], v[14:15], v[12:13]
	v_pk_mul_f32 v[12:13], v[110:111], s[18:19] op_sel:[1,0] op_sel_hi:[0,0]
	v_pk_fma_f32 v[82:83], v[50:51], s[14:15], v[12:13] op_sel_hi:[1,0,1]
	v_pk_fma_f32 v[84:85], v[50:51], s[14:15], v[12:13] op_sel_hi:[1,0,1] neg_lo:[0,0,1] neg_hi:[0,0,1]
	v_mov_b32_e32 v12, v82
	v_mov_b32_e32 v13, v85
	v_pk_add_f32 v[12:13], v[12:13], v[22:23]
	v_pk_mul_f32 v[22:23], v[52:53], s[34:35] op_sel:[1,0] op_sel_hi:[0,0]
	v_pk_fma_f32 v[114:115], v[30:31], s[22:23], v[22:23] op_sel_hi:[1,0,1]
	v_pk_fma_f32 v[116:117], v[30:31], s[22:23], v[22:23] op_sel_hi:[1,0,1] neg_lo:[0,0,1] neg_hi:[0,0,1]
	v_pk_mul_f32 v[48:49], v[54:55], s[26:27] op_sel:[1,0] op_sel_hi:[0,0]
	v_mov_b32_e32 v22, v114
	v_mov_b32_e32 v23, v117
	v_pk_fma_f32 v[118:119], v[28:29], s[0:1], v[48:49] op_sel_hi:[1,0,1]
	v_pk_fma_f32 v[120:121], v[28:29], s[0:1], v[48:49] op_sel_hi:[1,0,1] neg_lo:[0,0,1] neg_hi:[0,0,1]
	v_pk_add_f32 v[22:23], v[22:23], v[0:1]
	v_mov_b32_e32 v48, v118
	v_mov_b32_e32 v49, v121
	v_pk_add_f32 v[22:23], v[48:49], v[22:23]
	v_pk_mul_f32 v[48:49], v[56:57], s[6:7] op_sel:[1,0] op_sel_hi:[0,0]
	v_pk_fma_f32 v[122:123], v[20:21], s[4:5], v[48:49] op_sel_hi:[1,0,1]
	v_pk_fma_f32 v[124:125], v[20:21], s[4:5], v[48:49] op_sel_hi:[1,0,1] neg_lo:[0,0,1] neg_hi:[0,0,1]
	v_mov_b32_e32 v48, v122
	v_mov_b32_e32 v49, v125
	v_pk_add_f32 v[22:23], v[48:49], v[22:23]
	v_pk_mul_f32 v[48:49], v[90:91], s[18:19] op_sel:[1,0] op_sel_hi:[0,0]
	v_pk_fma_f32 v[126:127], v[34:35], s[14:15], v[48:49] op_sel_hi:[1,0,1]
	v_pk_fma_f32 v[128:129], v[34:35], s[14:15], v[48:49] op_sel_hi:[1,0,1] neg_lo:[0,0,1] neg_hi:[0,0,1]
	v_mov_b32_e32 v48, v126
	v_mov_b32_e32 v49, v129
	s_mov_b32 s28, 0xbe903f40
	v_pk_add_f32 v[22:23], v[48:49], v[22:23]
	v_pk_mul_f32 v[48:49], v[110:111], s[28:29] op_sel:[1,0] op_sel_hi:[0,0]
	v_pk_fma_f32 v[130:131], v[50:51], s[16:17], v[48:49] op_sel_hi:[1,0,1]
	v_pk_fma_f32 v[132:133], v[50:51], s[16:17], v[48:49] op_sel_hi:[1,0,1] neg_lo:[0,0,1] neg_hi:[0,0,1]
	v_mov_b32_e32 v48, v130
	v_mov_b32_e32 v49, v133
	v_pk_add_f32 v[48:49], v[48:49], v[22:23]
	v_pk_mul_f32 v[22:23], v[52:53], s[18:19] op_sel:[1,0] op_sel_hi:[0,0]
	v_pk_fma_f32 v[92:93], v[30:31], s[14:15], v[22:23] op_sel_hi:[1,0,1]
	v_pk_fma_f32 v[94:95], v[30:31], s[14:15], v[22:23] op_sel_hi:[1,0,1] neg_lo:[0,0,1] neg_hi:[0,0,1]
	v_pk_mul_f32 v[98:99], v[54:55], s[30:31] op_sel:[1,0] op_sel_hi:[0,0]
	v_mov_b32_e32 v22, v92
	v_mov_b32_e32 v23, v95
	v_pk_fma_f32 v[96:97], v[28:29], s[4:5], v[98:99] op_sel_hi:[1,0,1]
	v_pk_fma_f32 v[98:99], v[28:29], s[4:5], v[98:99] op_sel_hi:[1,0,1] neg_lo:[0,0,1] neg_hi:[0,0,1]
	v_mov_b32_e32 v100, v96
	v_mov_b32_e32 v101, v99
	v_pk_add_f32 v[22:23], v[22:23], v[0:1]
	v_pk_mul_f32 v[102:103], v[56:57], s[34:35] op_sel:[1,0] op_sel_hi:[0,0]
	v_pk_add_f32 v[22:23], v[100:101], v[22:23]
	v_pk_fma_f32 v[100:101], v[20:21], s[22:23], v[102:103] op_sel_hi:[1,0,1]
	v_pk_fma_f32 v[102:103], v[20:21], s[22:23], v[102:103] op_sel_hi:[1,0,1] neg_lo:[0,0,1] neg_hi:[0,0,1]
	v_mov_b32_e32 v104, v100
	v_mov_b32_e32 v105, v103
	v_pk_mul_f32 v[106:107], v[90:91], s[28:29] op_sel:[1,0] op_sel_hi:[0,0]
	v_pk_add_f32 v[22:23], v[104:105], v[22:23]
	v_pk_fma_f32 v[104:105], v[34:35], s[16:17], v[106:107] op_sel_hi:[1,0,1]
	v_pk_fma_f32 v[106:107], v[34:35], s[16:17], v[106:107] op_sel_hi:[1,0,1] neg_lo:[0,0,1] neg_hi:[0,0,1]
	v_mov_b32_e32 v108, v104
	v_mov_b32_e32 v109, v107
	v_pk_mul_f32 v[112:113], v[110:111], s[20:21] op_sel:[1,0] op_sel_hi:[0,0]
	v_pk_add_f32 v[22:23], v[108:109], v[22:23]
	v_pk_fma_f32 v[108:109], v[50:51], s[0:1], v[112:113] op_sel_hi:[1,0,1]
	v_pk_fma_f32 v[112:113], v[50:51], s[0:1], v[112:113] op_sel_hi:[1,0,1] neg_lo:[0,0,1] neg_hi:[0,0,1]
	v_mov_b32_e32 v136, v108
	v_mov_b32_e32 v137, v113
	v_pk_add_f32 v[22:23], v[136:137], v[22:23]
	s_barrier
	s_and_saveexec_b64 s[26:27], vcc
	s_cbranch_execz .LBB0_7
; %bb.6:
	v_pk_add_f32 v[2:3], v[2:3], v[0:1]
	v_mov_b32_e32 v117, v115
	v_pk_add_f32 v[2:3], v[16:17], v[2:3]
	v_mov_b32_e32 v121, v119
	v_pk_add_f32 v[2:3], v[18:19], v[2:3]
	v_mul_lo_u16_e32 v18, 11, v36
	v_pk_add_f32 v[2:3], v[8:9], v[2:3]
	v_add_lshl_u32 v40, v134, v18, 3
	v_pk_add_f32 v[2:3], v[10:11], v[2:3]
	v_pk_add_f32 v[18:19], v[116:117], v[0:1]
	;; [unrolled: 1-line block ×5, first 2 shown]
	v_mov_b32_e32 v125, v123
	v_pk_add_f32 v[2:3], v[24:25], v[2:3]
	v_pk_add_f32 v[18:19], v[124:125], v[18:19]
	v_mov_b32_e32 v129, v127
	v_pk_add_f32 v[2:3], v[26:27], v[2:3]
	v_pk_add_f32 v[18:19], v[128:129], v[18:19]
	;; [unrolled: 3-line block ×3, first 2 shown]
	v_mov_b32_e32 v47, v45
	v_mov_b32_e32 v43, v41
	ds_write2_b64 v40, v[2:3], v[18:19] offset1:1
	v_pk_add_f32 v[2:3], v[46:47], v[0:1]
	v_mov_b32_e32 v65, v63
	v_pk_add_f32 v[18:19], v[42:43], v[0:1]
	v_mov_b32_e32 v61, v59
	;; [unrolled: 2-line block ×6, first 2 shown]
	v_mov_b32_e32 v4, v53
	v_mov_b32_e32 v5, v52
	v_pk_add_f32 v[2:3], v[80:81], v[2:3]
	v_mov_b32_e32 v89, v87
	v_pk_add_f32 v[18:19], v[76:77], v[18:19]
	v_mov_b32_e32 v85, v83
	v_mov_b32_e32 v6, v55
	;; [unrolled: 1-line block ×3, first 2 shown]
	v_pk_add_f32 v[2:3], v[88:89], v[2:3]
	v_pk_add_f32 v[18:19], v[84:85], v[18:19]
	v_pk_mul_f32 v[4:5], v[4:5], s[28:29] op_sel_hi:[1,0]
	ds_write2_b64 v40, v[2:3], v[18:19] offset0:2 offset1:3
	v_pk_mul_f32 v[6:7], v[6:7], s[24:25] op_sel_hi:[1,0]
	v_pk_fma_f32 v[18:19], v[30:31], s[16:17], v[4:5] op_sel_hi:[1,0,1] neg_lo:[0,0,1] neg_hi:[0,0,1]
	v_pk_fma_f32 v[4:5], v[30:31], s[16:17], v[4:5] op_sel_hi:[1,0,1]
	v_mov_b32_e32 v8, v57
	v_mov_b32_e32 v9, v56
	v_mov_b32_e32 v24, v18
	v_mov_b32_e32 v25, v5
	v_pk_fma_f32 v[26:27], v[28:29], s[22:23], v[6:7] op_sel_hi:[1,0,1] neg_lo:[0,0,1] neg_hi:[0,0,1]
	v_pk_fma_f32 v[6:7], v[28:29], s[22:23], v[6:7] op_sel_hi:[1,0,1]
	v_pk_mul_f32 v[8:9], v[8:9], s[18:19] op_sel_hi:[1,0]
	v_pk_add_f32 v[24:25], v[24:25], v[0:1]
	v_mov_b32_e32 v28, v26
	v_mov_b32_e32 v29, v7
	;; [unrolled: 1-line block ×4, first 2 shown]
	v_pk_add_f32 v[24:25], v[28:29], v[24:25]
	v_pk_fma_f32 v[28:29], v[20:21], s[14:15], v[8:9] op_sel_hi:[1,0,1] neg_lo:[0,0,1] neg_hi:[0,0,1]
	v_pk_fma_f32 v[8:9], v[20:21], s[14:15], v[8:9] op_sel_hi:[1,0,1]
	v_mov_b32_e32 v95, v93
	v_pk_mul_f32 v[10:11], v[10:11], s[20:21] op_sel_hi:[1,0]
	v_mov_b32_e32 v20, v28
	v_mov_b32_e32 v21, v9
	v_mov_b32_e32 v5, v19
	v_mov_b32_e32 v16, v111
	v_mov_b32_e32 v17, v110
	v_pk_add_f32 v[2:3], v[94:95], v[0:1]
	v_mov_b32_e32 v99, v97
	v_pk_add_f32 v[20:21], v[20:21], v[24:25]
	v_pk_fma_f32 v[24:25], v[34:35], s[0:1], v[10:11] op_sel_hi:[1,0,1] neg_lo:[0,0,1] neg_hi:[0,0,1]
	v_pk_fma_f32 v[10:11], v[34:35], s[0:1], v[10:11] op_sel_hi:[1,0,1]
	v_pk_add_f32 v[0:1], v[4:5], v[0:1]
	v_mov_b32_e32 v7, v27
	v_pk_add_f32 v[2:3], v[98:99], v[2:3]
	v_mov_b32_e32 v103, v101
	v_pk_mul_f32 v[16:17], v[16:17], s[6:7] op_sel_hi:[1,0]
	v_mov_b32_e32 v30, v24
	v_mov_b32_e32 v31, v11
	v_pk_add_f32 v[0:1], v[6:7], v[0:1]
	v_mov_b32_e32 v9, v29
	v_pk_add_f32 v[2:3], v[102:103], v[2:3]
	;; [unrolled: 2-line block ×3, first 2 shown]
	v_pk_fma_f32 v[30:31], v[50:51], s[4:5], v[16:17] op_sel_hi:[1,0,1] neg_lo:[0,0,1] neg_hi:[0,0,1]
	v_pk_fma_f32 v[16:17], v[50:51], s[4:5], v[16:17] op_sel_hi:[1,0,1]
	v_pk_add_f32 v[0:1], v[8:9], v[0:1]
	v_mov_b32_e32 v11, v25
	v_pk_add_f32 v[2:3], v[106:107], v[2:3]
	v_mov_b32_e32 v113, v109
	v_mov_b32_e32 v32, v30
	;; [unrolled: 1-line block ×3, first 2 shown]
	v_pk_add_f32 v[0:1], v[10:11], v[0:1]
	v_mov_b32_e32 v17, v31
	v_pk_add_f32 v[2:3], v[112:113], v[2:3]
	v_pk_add_f32 v[20:21], v[32:33], v[20:21]
	;; [unrolled: 1-line block ×3, first 2 shown]
	ds_write2_b64 v40, v[2:3], v[20:21] offset0:4 offset1:5
	ds_write2_b64 v40, v[0:1], v[22:23] offset0:6 offset1:7
	;; [unrolled: 1-line block ×3, first 2 shown]
	ds_write_b64 v40, v[48:49] offset:80
.LBB0_7:
	s_or_b64 exec, exec, s[26:27]
	v_lshl_add_u64 v[24:25], v[36:37], 0, -11
	v_cmp_gt_u16_e64 s[0:1], 11, v36
	s_load_dwordx4 s[4:7], s[2:3], 0x0
	s_waitcnt lgkmcnt(0)
	v_cndmask_b32_e64 v34, v24, v36, s[0:1]
	v_mul_hi_i32_i24_e32 v1, 6, v34
	v_mul_i32_i24_e32 v0, 6, v34
	v_lshl_add_u64 v[16:17], v[0:1], 3, s[10:11]
	s_barrier
	global_load_dwordx4 v[8:11], v[16:17], off
	global_load_dwordx4 v[0:3], v[16:17], off offset:32
	global_load_dwordx4 v[4:7], v[16:17], off offset:16
	v_add_lshl_u32 v90, v134, v36, 3
	v_mov_b32_e32 v20, 0x4d
	ds_read2_b64 v[16:19], v90 offset1:22
	v_cmp_lt_u16_e64 s[2:3], 10, v36
	s_mov_b32 s20, 0x3d64c772
	s_mov_b32 s22, 0x3eae86e6
	v_cndmask_b32_e64 v35, 0, v20, s[2:3]
	ds_read2_b64 v[26:29], v90 offset0:44 offset1:66
	ds_read2_b64 v[30:33], v90 offset0:88 offset1:110
	ds_read_b64 v[20:21], v90 offset:1056
	v_add_u32_e32 v34, v34, v35
	v_add_lshl_u32 v91, v134, v34, 3
	s_mov_b32 s21, 0x3f4a47b2
	s_mov_b32 s23, 0xbf08b237
	;; [unrolled: 1-line block ×9, first 2 shown]
	s_waitcnt lgkmcnt(0)
	s_barrier
	s_waitcnt vmcnt(2)
	v_pk_mul_f32 v[34:35], v[18:19], v[8:9] op_sel:[0,1]
	v_mov_b32_e32 v40, v11
	s_waitcnt vmcnt(1)
	v_pk_mul_f32 v[42:43], v[32:33], v[0:1] op_sel:[0,1]
	v_mov_b32_e32 v44, v3
	s_waitcnt vmcnt(0)
	v_pk_mul_f32 v[46:47], v[28:29], v[4:5] op_sel:[0,1]
	v_mov_b32_e32 v50, v7
	v_pk_fma_f32 v[52:53], v[18:19], v[8:9], v[34:35] op_sel:[0,0,1] op_sel_hi:[1,1,0] neg_lo:[0,0,1] neg_hi:[0,0,1]
	v_pk_fma_f32 v[18:19], v[18:19], v[8:9], v[34:35] op_sel:[0,0,1] op_sel_hi:[1,0,0]
	v_pk_mul_f32 v[34:35], v[26:27], v[40:41] op_sel_hi:[1,0]
	v_pk_fma_f32 v[40:41], v[32:33], v[0:1], v[42:43] op_sel:[0,0,1] op_sel_hi:[1,0,0] neg_lo:[0,0,1] neg_hi:[0,0,1]
	v_pk_fma_f32 v[32:33], v[32:33], v[0:1], v[42:43] op_sel:[0,0,1] op_sel_hi:[1,0,0]
	v_pk_mul_f32 v[42:43], v[20:21], v[44:45] op_sel_hi:[1,0]
	;; [unrolled: 3-line block ×3, first 2 shown]
	v_mov_b32_e32 v53, v19
	v_pk_fma_f32 v[18:19], v[26:27], v[10:11], v[34:35] op_sel:[0,0,1] op_sel_hi:[1,1,0] neg_lo:[0,0,1] neg_hi:[0,0,1]
	v_pk_fma_f32 v[26:27], v[26:27], v[10:11], v[34:35] op_sel:[0,0,1] op_sel_hi:[1,0,0]
	v_mov_b32_e32 v41, v33
	v_pk_fma_f32 v[32:33], v[20:21], v[2:3], v[42:43] op_sel:[0,0,1] op_sel_hi:[1,1,0] neg_lo:[0,0,1] neg_hi:[0,0,1]
	v_pk_fma_f32 v[20:21], v[20:21], v[2:3], v[42:43] op_sel:[0,0,1] op_sel_hi:[1,0,0]
	;; [unrolled: 3-line block ×3, first 2 shown]
	v_mov_b32_e32 v19, v27
	v_mov_b32_e32 v33, v21
	;; [unrolled: 1-line block ×3, first 2 shown]
	v_pk_add_f32 v[20:21], v[52:53], v[32:33]
	v_pk_add_f32 v[26:27], v[52:53], v[32:33] neg_lo:[0,1] neg_hi:[0,1]
	v_pk_add_f32 v[30:31], v[18:19], v[40:41]
	v_pk_add_f32 v[18:19], v[18:19], v[40:41] neg_lo:[0,1] neg_hi:[0,1]
	;; [unrolled: 2-line block ×3, first 2 shown]
	v_pk_add_f32 v[34:35], v[30:31], v[20:21] neg_lo:[0,1] neg_hi:[0,1]
	v_pk_add_f32 v[42:43], v[30:31], v[20:21]
	v_mov_b32_e32 v44, v32
	v_mov_b32_e32 v45, v21
	;; [unrolled: 1-line block ×6, first 2 shown]
	v_pk_add_f32 v[50:51], v[28:29], v[18:19] op_sel:[1,1] op_sel_hi:[0,0]
	v_mov_b32_e32 v52, v29
	v_mov_b32_e32 v53, v26
	v_mov_b32_e32 v54, v19
	v_mov_b32_e32 v55, v28
	v_mov_b32_e32 v56, v27
	v_mov_b32_e32 v57, v28
	v_mov_b32_e32 v28, v29
	v_mov_b32_e32 v29, v18
	v_pk_add_f32 v[40:41], v[18:19], v[26:27] op_sel:[1,1] op_sel_hi:[0,0] neg_lo:[0,1] neg_hi:[0,1]
	v_pk_add_f32 v[18:19], v[44:45], v[46:47] neg_lo:[0,1] neg_hi:[0,1]
	v_pk_add_f32 v[20:21], v[20:21], v[30:31] neg_lo:[0,1] neg_hi:[0,1]
	;; [unrolled: 1-line block ×4, first 2 shown]
	v_pk_add_f32 v[32:33], v[32:33], v[42:43]
	v_pk_mul_f32 v[18:19], v[18:19], s[20:21]
	v_pk_mul_f32 v[44:45], v[20:21], s[2:3]
	;; [unrolled: 1-line block ×4, first 2 shown]
	v_pk_add_f32 v[42:43], v[50:51], v[26:27] op_sel:[0,1] op_sel_hi:[1,0]
	v_pk_add_f32 v[16:17], v[16:17], v[32:33]
	v_mov_b32_e32 v26, v44
	v_mov_b32_e32 v27, v19
	v_mov_b32_e32 v50, v46
	v_mov_b32_e32 v51, v31
	s_mov_b32 s20, 0x3ee1c552
	v_pk_fma_f32 v[32:33], v[32:33], s[18:19], v[16:17] op_sel_hi:[1,0,1]
	v_pk_fma_f32 v[20:21], v[20:21], s[2:3], v[18:19]
	v_pk_fma_f32 v[26:27], v[34:35], s[16:17], v[26:27] op_sel_hi:[1,0,1] neg_lo:[1,0,1] neg_hi:[1,0,1]
	v_pk_fma_f32 v[28:29], v[28:29], s[22:23], v[30:31]
	v_pk_fma_f32 v[50:51], v[40:41], s[14:15], v[50:51] op_sel_hi:[1,0,1] neg_lo:[1,0,1] neg_hi:[1,0,1]
	v_mov_b32_e32 v19, v45
	v_mov_b32_e32 v31, v47
	v_pk_add_f32 v[52:53], v[20:21], v[32:33]
	v_pk_add_f32 v[20:21], v[26:27], v[32:33]
	v_pk_fma_f32 v[26:27], v[42:43], s[20:21], v[28:29] op_sel_hi:[1,0,1]
	v_pk_fma_f32 v[28:29], v[42:43], s[20:21], v[50:51] op_sel_hi:[1,0,1]
	v_pk_fma_f32 v[18:19], v[34:35], s[16:17], v[18:19] op_sel_hi:[1,0,1] neg_lo:[0,0,1] neg_hi:[0,0,1]
	v_pk_fma_f32 v[30:31], v[40:41], s[14:15], v[30:31] op_sel_hi:[1,0,1] neg_lo:[0,0,1] neg_hi:[0,0,1]
	v_pk_add_f32 v[50:51], v[20:21], v[28:29]
	v_pk_add_f32 v[28:29], v[20:21], v[28:29] neg_lo:[0,1] neg_hi:[0,1]
	v_pk_add_f32 v[20:21], v[52:53], v[26:27] neg_lo:[0,1] neg_hi:[0,1]
	v_pk_add_f32 v[26:27], v[52:53], v[26:27]
	v_pk_add_f32 v[18:19], v[18:19], v[32:33]
	v_pk_fma_f32 v[30:31], v[42:43], s[20:21], v[30:31] op_sel_hi:[1,0,1]
	v_mov_b32_e32 v52, v26
	v_mov_b32_e32 v53, v21
	v_pk_add_f32 v[32:33], v[18:19], v[30:31] neg_lo:[0,1] neg_hi:[0,1]
	v_pk_add_f32 v[18:19], v[18:19], v[30:31]
	ds_write2_b64 v91, v[16:17], v[52:53] offset1:11
	v_mov_b32_e32 v16, v50
	v_mov_b32_e32 v17, v29
	;; [unrolled: 1-line block ×7, first 2 shown]
	ds_write2_b64 v91, v[16:17], v[30:31] offset0:22 offset1:33
	ds_write2_b64 v91, v[18:19], v[28:29] offset0:44 offset1:55
	ds_write_b64 v91, v[20:21] offset:528
	s_waitcnt lgkmcnt(0)
	s_barrier
	ds_read2_b64 v[28:31], v90 offset1:22
	ds_read2_b64 v[32:35], v90 offset0:44 offset1:77
	ds_read2_b64 v[16:19], v90 offset0:99 offset1:121
	s_and_saveexec_b64 s[2:3], s[0:1]
	s_cbranch_execz .LBB0_9
; %bb.8:
	ds_read2_b64 v[20:23], v90 offset0:66 offset1:143
	s_mov_b64 s[14:15], 0x42
	v_lshl_add_u64 v[24:25], v[36:37], 0, s[14:15]
	s_waitcnt lgkmcnt(0)
	v_mov_b32_e32 v27, v21
.LBB0_9:
	s_or_b64 exec, exec, s[2:3]
	global_load_dwordx2 v[42:43], v39, s[10:11] offset:704
	global_load_dwordx2 v[44:45], v39, s[10:11] offset:528
	;; [unrolled: 1-line block ×3, first 2 shown]
	v_lshl_add_u64 v[24:25], v[24:25], 3, s[10:11]
	global_load_dwordx2 v[40:41], v[24:25], off offset:528
	v_mov_b32_e32 v21, v27
	v_lshl_add_u32 v37, v36, 3, v135
	v_add_u32_e32 v92, v39, v135
	s_waitcnt vmcnt(3)
	v_mov_b32_e32 v24, v43
	s_waitcnt lgkmcnt(0)
	v_pk_mul_f32 v[26:27], v[16:17], v[42:43] op_sel:[1,0] op_sel_hi:[0,1]
	s_waitcnt vmcnt(2)
	v_pk_mul_f32 v[50:51], v[34:35], v[44:45] op_sel:[0,1]
	s_waitcnt vmcnt(1)
	v_pk_mul_f32 v[52:53], v[18:19], v[46:47] op_sel:[0,1]
	v_pk_mul_f32 v[24:25], v[16:17], v[24:25] op_sel:[1,0] op_sel_hi:[0,1]
	v_mov_b32_e32 v27, v26
	v_pk_fma_f32 v[54:55], v[34:35], v[44:45], v[50:51] op_sel:[0,0,1] op_sel_hi:[1,1,0] neg_lo:[0,0,1] neg_hi:[0,0,1]
	v_pk_fma_f32 v[34:35], v[34:35], v[44:45], v[50:51] op_sel:[0,0,1] op_sel_hi:[1,0,0]
	v_pk_fma_f32 v[50:51], v[18:19], v[46:47], v[52:53] op_sel:[0,0,1] op_sel_hi:[1,1,0] neg_lo:[0,0,1] neg_hi:[0,0,1]
	v_pk_fma_f32 v[18:19], v[18:19], v[46:47], v[52:53] op_sel:[0,0,1] op_sel_hi:[1,0,0]
	s_waitcnt vmcnt(0)
	v_pk_mul_f32 v[52:53], v[22:23], v[40:41] op_sel:[1,0]
	v_pk_fma_f32 v[56:57], v[16:17], v[42:43], v[24:25] neg_lo:[0,0,1] neg_hi:[0,0,1]
	v_pk_fma_f32 v[16:17], v[16:17], v[42:43], v[26:27] op_sel:[1,0,0] op_sel_hi:[0,1,1]
	v_mov_b32_e32 v55, v35
	v_mov_b32_e32 v51, v19
	v_pk_fma_f32 v[26:27], v[22:23], v[40:41], v[52:53] op_sel:[0,0,1] op_sel_hi:[1,1,0] neg_lo:[0,0,1] neg_hi:[0,0,1]
	v_pk_fma_f32 v[22:23], v[22:23], v[40:41], v[52:53] op_sel:[0,0,1] op_sel_hi:[0,1,0]
	v_pk_add_f32 v[18:19], v[28:29], v[54:55] neg_lo:[0,1] neg_hi:[0,1]
	v_mov_b32_e32 v27, v23
	v_mov_b32_e32 v57, v17
	v_pk_add_f32 v[24:25], v[32:33], v[50:51] neg_lo:[0,1] neg_hi:[0,1]
	v_pk_fma_f32 v[16:17], v[28:29], 2.0, v[18:19] op_sel_hi:[1,0,1] neg_lo:[0,0,1] neg_hi:[0,0,1]
	v_pk_add_f32 v[28:29], v[30:31], v[56:57] neg_lo:[0,1] neg_hi:[0,1]
	v_pk_fma_f32 v[22:23], v[32:33], 2.0, v[24:25] op_sel_hi:[1,0,1] neg_lo:[0,0,1] neg_hi:[0,0,1]
	;; [unrolled: 2-line block ×3, first 2 shown]
	v_pk_fma_f32 v[30:31], v[20:21], 2.0, v[32:33] op_sel_hi:[1,0,1] neg_lo:[0,0,1] neg_hi:[0,0,1]
	ds_write_b64 v37, v[28:29] offset:792
	ds_write2_b64 v37, v[22:23], v[18:19] offset0:44 offset1:77
	ds_write2_b64 v37, v[16:17], v[26:27] offset1:22
	ds_write_b64 v92, v[24:25] offset:968
	s_and_saveexec_b64 s[2:3], s[0:1]
	s_cbranch_execz .LBB0_11
; %bb.10:
	ds_write2_b64 v37, v[30:31], v[32:33] offset0:66 offset1:143
.LBB0_11:
	s_or_b64 exec, exec, s[2:3]
	s_waitcnt lgkmcnt(0)
	s_barrier
	s_and_saveexec_b64 s[2:3], vcc
	s_cbranch_execz .LBB0_13
; %bb.12:
	global_load_dwordx2 v[20:21], v39, s[8:9] offset:1232
	s_add_u32 s10, s8, 0x4d0
	s_addc_u32 s11, s9, 0
	global_load_dwordx2 v[34:35], v39, s[10:11] offset:112
	global_load_dwordx2 v[70:71], v39, s[10:11] offset:224
	;; [unrolled: 1-line block ×10, first 2 shown]
	ds_read2_b64 v[50:53], v37 offset1:14
	ds_read2_b64 v[54:57], v37 offset0:28 offset1:42
	ds_read2_b64 v[58:61], v37 offset0:56 offset1:70
	;; [unrolled: 1-line block ×4, first 2 shown]
	ds_read_b64 v[88:89], v37 offset:1120
	s_waitcnt vmcnt(6) lgkmcnt(3)
	v_mul_f32_e32 v96, v59, v75
	s_waitcnt vmcnt(5)
	v_mul_f32_e32 v97, v61, v77
	s_waitcnt vmcnt(4) lgkmcnt(2)
	v_mul_f32_e32 v98, v63, v79
	v_mul_f32_e32 v93, v51, v21
	;; [unrolled: 1-line block ×3, first 2 shown]
	v_fma_f32 v94, v50, v20, -v93
	v_fmac_f32_e32 v95, v51, v20
	v_mul_f32_e32 v20, v53, v35
	v_mul_f32_e32 v21, v52, v35
	;; [unrolled: 1-line block ×9, first 2 shown]
	s_waitcnt vmcnt(3)
	v_mul_f32_e32 v99, v65, v81
	v_mul_f32_e32 v77, v64, v81
	s_waitcnt vmcnt(2) lgkmcnt(1)
	v_mul_f32_e32 v100, v67, v83
	v_mul_f32_e32 v79, v66, v83
	s_waitcnt vmcnt(1)
	v_mul_f32_e32 v101, v69, v85
	v_mul_f32_e32 v81, v68, v85
	s_waitcnt vmcnt(0) lgkmcnt(0)
	v_mul_f32_e32 v85, v89, v87
	v_mul_f32_e32 v83, v88, v87
	v_fma_f32 v20, v52, v34, -v20
	v_fmac_f32_e32 v21, v53, v34
	v_fma_f32 v34, v54, v70, -v50
	v_fmac_f32_e32 v35, v55, v70
	;; [unrolled: 2-line block ×10, first 2 shown]
	ds_write2_b64 v37, v[94:95], v[20:21] offset1:14
	ds_write2_b64 v37, v[34:35], v[50:51] offset0:28 offset1:42
	ds_write2_b64 v37, v[70:71], v[72:73] offset0:56 offset1:70
	;; [unrolled: 1-line block ×4, first 2 shown]
	ds_write_b64 v37, v[82:83] offset:1120
.LBB0_13:
	s_or_b64 exec, exec, s[2:3]
	v_mov_b32_e32 v34, v7
	v_mov_b32_e32 v35, v0
	s_waitcnt lgkmcnt(0)
	s_barrier
	s_and_saveexec_b64 s[2:3], vcc
	s_cbranch_execz .LBB0_15
; %bb.14:
	ds_read2_b64 v[16:19], v37 offset1:14
	ds_read2_b64 v[26:29], v37 offset0:28 offset1:42
	ds_read2_b64 v[22:25], v37 offset0:56 offset1:70
	;; [unrolled: 1-line block ×4, first 2 shown]
	ds_read_b64 v[48:49], v37 offset:1120
.LBB0_15:
	s_or_b64 exec, exec, s[2:3]
	s_waitcnt lgkmcnt(0)
	v_pk_add_f32 v[20:21], v[18:19], v[48:49] neg_lo:[0,1] neg_hi:[0,1]
	v_pk_add_f32 v[60:61], v[18:19], v[48:49]
	v_mov_b32_e32 v51, v20
	v_mov_b32_e32 v50, v60
	;; [unrolled: 1-line block ×3, first 2 shown]
	v_pk_add_f32 v[20:21], v[26:27], v[14:15] neg_lo:[0,1] neg_hi:[0,1]
	v_pk_add_f32 v[62:63], v[26:27], v[14:15]
	v_mov_b32_e32 v53, v20
	v_mov_b32_e32 v52, v62
	;; [unrolled: 1-line block ×3, first 2 shown]
	v_pk_add_f32 v[20:21], v[28:29], v[12:13] neg_lo:[0,1] neg_hi:[0,1]
	v_pk_add_f32 v[64:65], v[28:29], v[12:13]
	s_mov_b32 s26, 0xbf4178ce
	v_mov_b32_e32 v54, v64
	v_mov_b32_e32 v55, v20
	;; [unrolled: 1-line block ×3, first 2 shown]
	v_pk_add_f32 v[20:21], v[22:23], v[32:33] neg_lo:[0,1] neg_hi:[0,1]
	v_pk_add_f32 v[66:67], v[22:23], v[32:33]
	s_mov_b32 s27, 0xbf27a4f4
	s_mov_b32 s36, 0x3f7d64f0
	v_mov_b32_e32 v56, v66
	v_mov_b32_e32 v57, v20
	;; [unrolled: 1-line block ×3, first 2 shown]
	v_pk_add_f32 v[20:21], v[24:25], v[30:31] neg_lo:[0,1] neg_hi:[0,1]
	v_pk_add_f32 v[68:69], v[24:25], v[30:31]
	v_pk_mul_f32 v[70:71], v[60:61], s[26:27]
	s_mov_b32 s2, s27
	s_mov_b32 s3, s26
	;; [unrolled: 1-line block ×3, first 2 shown]
	v_mov_b32_e32 v58, v68
	v_mov_b32_e32 v59, v20
	;; [unrolled: 1-line block ×3, first 2 shown]
	v_pk_fma_f32 v[20:21], v[50:51], s[2:3], v[70:71] neg_lo:[0,0,1] neg_hi:[0,0,1]
	v_pk_fma_f32 v[72:73], v[50:51], s[2:3], v[70:71]
	v_pk_mul_f32 v[74:75], v[62:63], s[36:37]
	s_mov_b32 s16, s37
	s_mov_b32 s17, s36
	v_mov_b32_e32 v21, v73
	v_pk_fma_f32 v[78:79], v[52:53], s[16:17], v[74:75] neg_lo:[0,0,1] neg_hi:[0,0,1]
	v_pk_fma_f32 v[76:77], v[52:53], s[16:17], v[74:75]
	s_mov_b32 s38, 0xbf0a6770
	v_pk_add_f32 v[20:21], v[16:17], v[20:21]
	v_mov_b32_e32 v79, v77
	s_mov_b32 s39, 0x3f575c64
	v_pk_add_f32 v[20:21], v[78:79], v[20:21]
	v_pk_mul_f32 v[78:79], v[64:65], s[38:39]
	s_mov_b32 s14, s39
	s_mov_b32 s15, s38
	v_pk_fma_f32 v[82:83], v[54:55], s[14:15], v[78:79] neg_lo:[0,0,1] neg_hi:[0,0,1]
	v_pk_fma_f32 v[80:81], v[54:55], s[14:15], v[78:79]
	s_mov_b32 s28, 0xbe903f40
	v_mov_b32_e32 v83, v81
	s_mov_b32 s29, 0xbf75a155
	v_pk_add_f32 v[20:21], v[82:83], v[20:21]
	v_pk_mul_f32 v[82:83], v[66:67], s[28:29]
	s_mov_b32 s10, s29
	s_mov_b32 s11, s28
	v_pk_fma_f32 v[86:87], v[56:57], s[10:11], v[82:83] neg_lo:[0,0,1] neg_hi:[0,0,1]
	v_pk_fma_f32 v[84:85], v[56:57], s[10:11], v[82:83]
	s_mov_b32 s30, 0x3f68dda4
	v_mov_b32_e32 v87, v85
	s_mov_b32 s31, 0x3ed4b147
	v_pk_add_f32 v[20:21], v[86:87], v[20:21]
	v_pk_mul_f32 v[86:87], v[68:69], s[30:31]
	s_mov_b32 s22, s31
	s_mov_b32 s23, s30
	v_pk_fma_f32 v[94:95], v[58:59], s[22:23], v[86:87] neg_lo:[0,0,1] neg_hi:[0,0,1]
	v_pk_fma_f32 v[88:89], v[58:59], s[22:23], v[86:87]
	s_nop 0
	v_mov_b32_e32 v95, v89
	v_pk_add_f32 v[20:21], v[94:95], v[20:21]
	s_barrier
	s_and_saveexec_b64 s[18:19], vcc
	s_cbranch_execz .LBB0_17
; %bb.16:
	v_pk_add_f32 v[18:19], v[18:19], v[16:17]
	s_mov_b32 s21, 0xbf68dda4
	v_pk_add_f32 v[18:19], v[26:27], v[18:19]
	s_mov_b32 s34, s21
	;; [unrolled: 2-line block ×4, first 2 shown]
	v_pk_add_f32 v[18:19], v[24:25], v[18:19]
	v_pk_mul_f32 v[22:23], v[62:63], s[34:35]
	v_pk_add_f32 v[18:19], v[30:31], v[18:19]
	v_pk_fma_f32 v[28:29], v[52:53], s[20:21], v[22:23] neg_lo:[1,0,0] neg_hi:[1,0,0]
	v_pk_add_f32 v[18:19], v[32:33], v[18:19]
	s_mov_b32 s25, 0xbf7d64f0
	v_pk_add_f32 v[12:13], v[12:13], v[18:19]
	s_mov_b32 s40, s25
	v_pk_add_f32 v[12:13], v[14:15], v[12:13]
	v_pk_mul_f32 v[14:15], v[60:61], s[38:39]
	v_pk_add_f32 v[24:25], v[48:49], v[12:13]
	v_pk_fma_f32 v[12:13], v[50:51], s[14:15], v[14:15]
	v_pk_fma_f32 v[18:19], v[50:51], s[14:15], v[14:15] neg_lo:[1,0,0] neg_hi:[1,0,0]
	s_mov_b32 s41, s37
	v_mov_b32_e32 v18, v12
	v_pk_add_f32 v[26:27], v[16:17], v[18:19]
	v_pk_fma_f32 v[18:19], v[52:53], s[20:21], v[22:23]
	s_mov_b32 s24, s37
	v_mov_b32_e32 v28, v18
	v_pk_add_f32 v[26:27], v[28:29], v[26:27]
	v_pk_mul_f32 v[28:29], v[64:65], s[40:41]
	v_mul_lo_u16_e32 v0, 11, v36
	v_pk_fma_f32 v[30:31], v[54:55], s[24:25], v[28:29]
	v_pk_fma_f32 v[32:33], v[54:55], s[24:25], v[28:29] neg_lo:[1,0,0] neg_hi:[1,0,0]
	v_lshl_add_u32 v0, v0, 3, v135
	v_mov_b32_e32 v32, v30
	v_pk_add_f32 v[26:27], v[32:33], v[26:27]
	v_pk_mul_f32 v[32:33], v[66:67], s[26:27]
	v_pk_mul_f32 v[106:107], v[62:63], s[26:27]
	v_pk_fma_f32 v[48:49], v[56:57], s[2:3], v[32:33]
	v_pk_fma_f32 v[100:101], v[56:57], s[2:3], v[32:33] neg_lo:[1,0,0] neg_hi:[1,0,0]
	v_pk_fma_f32 v[108:109], v[52:53], s[2:3], v[106:107]
	v_mov_b32_e32 v100, v48
	v_pk_add_f32 v[26:27], v[100:101], v[26:27]
	v_pk_mul_f32 v[100:101], v[68:69], s[28:29]
	v_pk_fma_f32 v[110:111], v[52:53], s[2:3], v[106:107] neg_lo:[1,0,0] neg_hi:[1,0,0]
	v_pk_fma_f32 v[102:103], v[58:59], s[10:11], v[100:101]
	v_pk_fma_f32 v[104:105], v[58:59], s[10:11], v[100:101] neg_lo:[1,0,0] neg_hi:[1,0,0]
	v_mov_b32_e32 v110, v108
	v_mov_b32_e32 v104, v102
	v_pk_add_f32 v[26:27], v[104:105], v[26:27]
	ds_write2_b64 v0, v[24:25], v[26:27] offset1:1
	v_pk_mul_f32 v[24:25], v[60:61], s[34:35]
	s_mov_b32 s35, 0x3e903f40
	v_pk_fma_f32 v[26:27], v[50:51], s[20:21], v[24:25]
	v_pk_fma_f32 v[104:105], v[50:51], s[20:21], v[24:25] neg_lo:[1,0,0] neg_hi:[1,0,0]
	s_mov_b32 s42, s35
	v_mov_b32_e32 v104, v26
	v_pk_add_f32 v[104:105], v[16:17], v[104:105]
	s_mov_b32 s43, s29
	v_pk_add_f32 v[104:105], v[110:111], v[104:105]
	s_mov_b32 s34, s29
	v_pk_mul_f32 v[110:111], v[64:65], s[42:43]
	s_mov_b32 s45, s39
	v_pk_fma_f32 v[112:113], v[54:55], s[34:35], v[110:111]
	v_pk_fma_f32 v[114:115], v[54:55], s[34:35], v[110:111] neg_lo:[1,0,0] neg_hi:[1,0,0]
	v_pk_mul_f32 v[128:129], v[62:63], s[42:43]
	v_mov_b32_e32 v114, v112
	v_pk_add_f32 v[104:105], v[114:115], v[104:105]
	v_pk_mul_f32 v[114:115], v[66:67], s[36:37]
	s_mov_b32 s37, 0x3f0a6770
	v_pk_fma_f32 v[116:117], v[56:57], s[16:17], v[114:115]
	v_pk_fma_f32 v[118:119], v[56:57], s[16:17], v[114:115] neg_lo:[1,0,0] neg_hi:[1,0,0]
	s_mov_b32 s44, s37
	v_mov_b32_e32 v118, v116
	v_pk_add_f32 v[104:105], v[118:119], v[104:105]
	s_mov_b32 s36, s39
	v_pk_mul_f32 v[118:119], v[68:69], s[44:45]
	v_pk_fma_f32 v[130:131], v[52:53], s[34:35], v[128:129]
	v_pk_fma_f32 v[120:121], v[58:59], s[36:37], v[118:119]
	v_pk_fma_f32 v[122:123], v[58:59], s[36:37], v[118:119] neg_lo:[1,0,0] neg_hi:[1,0,0]
	v_pk_fma_f32 v[132:133], v[52:53], s[34:35], v[128:129] neg_lo:[1,0,0] neg_hi:[1,0,0]
	v_mov_b32_e32 v122, v120
	v_pk_add_f32 v[104:105], v[122:123], v[104:105]
	v_pk_mul_f32 v[122:123], v[60:61], s[40:41]
	v_mov_b32_e32 v132, v130
	v_pk_fma_f32 v[124:125], v[50:51], s[24:25], v[122:123]
	v_pk_fma_f32 v[126:127], v[50:51], s[24:25], v[122:123] neg_lo:[1,0,0] neg_hi:[1,0,0]
	v_pk_mul_f32 v[94:95], v[50:51], s[2:3]
	v_mov_b32_e32 v126, v124
	v_pk_add_f32 v[126:127], v[16:17], v[126:127]
	v_pk_add_f32 v[70:71], v[70:71], v[94:95] neg_lo:[0,1] neg_hi:[0,1]
	v_pk_add_f32 v[126:127], v[132:133], v[126:127]
	v_pk_mul_f32 v[132:133], v[64:65], s[30:31]
	v_pk_mul_f32 v[96:97], v[52:53], s[16:17]
	v_pk_fma_f32 v[136:137], v[54:55], s[22:23], v[132:133]
	v_pk_fma_f32 v[138:139], v[54:55], s[22:23], v[132:133] neg_lo:[1,0,0] neg_hi:[1,0,0]
	v_mov_b32_e32 v73, v71
	v_mov_b32_e32 v138, v136
	v_pk_add_f32 v[126:127], v[138:139], v[126:127]
	v_pk_mul_f32 v[138:139], v[66:67], s[38:39]
	v_pk_mul_f32 v[98:99], v[54:55], s[14:15]
	v_pk_fma_f32 v[140:141], v[56:57], s[14:15], v[138:139]
	v_pk_fma_f32 v[142:143], v[56:57], s[14:15], v[138:139] neg_lo:[1,0,0] neg_hi:[1,0,0]
	v_pk_add_f32 v[70:71], v[16:17], v[72:73]
	v_mov_b32_e32 v142, v140
	v_pk_add_f32 v[126:127], v[142:143], v[126:127]
	v_pk_mul_f32 v[142:143], v[68:69], s[26:27]
	v_pk_add_f32 v[72:73], v[74:75], v[96:97] neg_lo:[0,1] neg_hi:[0,1]
	v_pk_fma_f32 v[144:145], v[58:59], s[2:3], v[142:143]
	v_pk_fma_f32 v[146:147], v[58:59], s[2:3], v[142:143] neg_lo:[1,0,0] neg_hi:[1,0,0]
	v_mov_b32_e32 v77, v73
	v_mov_b32_e32 v146, v144
	v_pk_add_f32 v[126:127], v[146:147], v[126:127]
	v_pk_mul_f32 v[146:147], v[56:57], s[10:11]
	v_pk_add_f32 v[72:73], v[78:79], v[98:99] neg_lo:[0,1] neg_hi:[0,1]
	ds_write2_b64 v0, v[104:105], v[126:127] offset0:2 offset1:3
	v_pk_mul_f32 v[104:105], v[58:59], s[22:23]
	v_mov_b32_e32 v81, v73
	v_pk_add_f32 v[72:73], v[82:83], v[146:147] neg_lo:[0,1] neg_hi:[0,1]
	v_pk_mul_f32 v[60:61], v[60:61], s[28:29]
	v_mov_b32_e32 v85, v73
	v_pk_add_f32 v[72:73], v[86:87], v[104:105] neg_lo:[0,1] neg_hi:[0,1]
	v_pk_mul_f32 v[62:63], v[62:63], s[44:45]
	v_mov_b32_e32 v89, v73
	v_pk_fma_f32 v[72:73], v[50:51], s[10:11], v[60:61]
	v_pk_fma_f32 v[74:75], v[50:51], s[10:11], v[60:61] neg_lo:[1,0,0] neg_hi:[1,0,0]
	v_pk_fma_f32 v[60:61], v[50:51], s[10:11], v[60:61] neg_lo:[0,0,1] neg_hi:[0,0,1]
	v_pk_add_f32 v[70:71], v[76:77], v[70:71]
	v_mov_b32_e32 v74, v72
	v_pk_fma_f32 v[76:77], v[52:53], s[36:37], v[62:63]
	v_pk_fma_f32 v[78:79], v[52:53], s[36:37], v[62:63] neg_lo:[1,0,0] neg_hi:[1,0,0]
	v_mov_b32_e32 v61, v73
	v_pk_fma_f32 v[62:63], v[52:53], s[36:37], v[62:63] neg_lo:[0,0,1] neg_hi:[0,0,1]
	v_pk_mul_f32 v[64:65], v[64:65], s[26:27]
	v_pk_add_f32 v[74:75], v[16:17], v[74:75]
	v_mov_b32_e32 v78, v76
	v_pk_add_f32 v[60:61], v[16:17], v[60:61]
	v_mov_b32_e32 v63, v77
	v_pk_add_f32 v[70:71], v[80:81], v[70:71]
	v_pk_add_f32 v[74:75], v[78:79], v[74:75]
	v_pk_fma_f32 v[78:79], v[54:55], s[2:3], v[64:65]
	v_pk_fma_f32 v[80:81], v[54:55], s[2:3], v[64:65] neg_lo:[1,0,0] neg_hi:[1,0,0]
	v_pk_add_f32 v[60:61], v[62:63], v[60:61]
	v_pk_fma_f32 v[62:63], v[54:55], s[2:3], v[64:65] neg_lo:[0,0,1] neg_hi:[0,0,1]
	v_pk_mul_f32 v[66:67], v[66:67], s[30:31]
	v_mov_b32_e32 v80, v78
	v_mov_b32_e32 v63, v79
	v_pk_add_f32 v[74:75], v[80:81], v[74:75]
	v_pk_fma_f32 v[80:81], v[56:57], s[22:23], v[66:67]
	v_pk_fma_f32 v[82:83], v[56:57], s[22:23], v[66:67] neg_lo:[1,0,0] neg_hi:[1,0,0]
	v_pk_add_f32 v[60:61], v[62:63], v[60:61]
	v_pk_fma_f32 v[62:63], v[56:57], s[22:23], v[66:67] neg_lo:[0,0,1] neg_hi:[0,0,1]
	v_pk_mul_f32 v[68:69], v[68:69], s[40:41]
	v_mov_b32_e32 v82, v80
	v_mov_b32_e32 v63, v81
	v_pk_add_f32 v[74:75], v[82:83], v[74:75]
	v_pk_fma_f32 v[82:83], v[58:59], s[24:25], v[68:69]
	v_pk_add_f32 v[60:61], v[62:63], v[60:61]
	v_pk_fma_f32 v[62:63], v[58:59], s[24:25], v[68:69] neg_lo:[0,0,1] neg_hi:[0,0,1]
	v_pk_fma_f32 v[14:15], v[50:51], s[14:15], v[14:15] neg_lo:[0,0,1] neg_hi:[0,0,1]
	v_mov_b32_e32 v63, v83
	v_pk_add_f32 v[60:61], v[62:63], v[60:61]
	ds_write2_b64 v0, v[60:61], v[20:21] offset0:6 offset1:7
	v_pk_fma_f32 v[60:61], v[50:51], s[24:25], v[122:123] neg_lo:[0,0,1] neg_hi:[0,0,1]
	v_pk_fma_f32 v[24:25], v[50:51], s[20:21], v[24:25] neg_lo:[0,0,1] neg_hi:[0,0,1]
	v_mov_b32_e32 v15, v13
	v_mov_b32_e32 v61, v125
	v_pk_fma_f32 v[62:63], v[52:53], s[34:35], v[128:129] neg_lo:[0,0,1] neg_hi:[0,0,1]
	v_mov_b32_e32 v25, v27
	v_pk_fma_f32 v[26:27], v[52:53], s[2:3], v[106:107] neg_lo:[0,0,1] neg_hi:[0,0,1]
	v_pk_add_f32 v[12:13], v[16:17], v[14:15]
	v_pk_fma_f32 v[14:15], v[52:53], s[20:21], v[22:23] neg_lo:[0,0,1] neg_hi:[0,0,1]
	v_pk_add_f32 v[60:61], v[16:17], v[60:61]
	v_mov_b32_e32 v63, v131
	v_pk_add_f32 v[24:25], v[16:17], v[24:25]
	v_mov_b32_e32 v27, v109
	v_mov_b32_e32 v15, v19
	v_pk_add_f32 v[60:61], v[62:63], v[60:61]
	v_pk_fma_f32 v[62:63], v[54:55], s[22:23], v[132:133] neg_lo:[0,0,1] neg_hi:[0,0,1]
	v_pk_add_f32 v[24:25], v[26:27], v[24:25]
	v_pk_fma_f32 v[26:27], v[54:55], s[34:35], v[110:111] neg_lo:[0,0,1] neg_hi:[0,0,1]
	;; [unrolled: 2-line block ×3, first 2 shown]
	v_mov_b32_e32 v63, v137
	v_mov_b32_e32 v27, v113
	;; [unrolled: 1-line block ×3, first 2 shown]
	v_pk_add_f32 v[60:61], v[62:63], v[60:61]
	v_pk_fma_f32 v[62:63], v[56:57], s[14:15], v[138:139] neg_lo:[0,0,1] neg_hi:[0,0,1]
	v_pk_add_f32 v[24:25], v[26:27], v[24:25]
	v_pk_fma_f32 v[26:27], v[56:57], s[16:17], v[114:115] neg_lo:[0,0,1] neg_hi:[0,0,1]
	;; [unrolled: 2-line block ×3, first 2 shown]
	v_mov_b32_e32 v63, v141
	v_mov_b32_e32 v27, v117
	;; [unrolled: 1-line block ×3, first 2 shown]
	v_pk_add_f32 v[70:71], v[84:85], v[70:71]
	v_pk_fma_f32 v[84:85], v[58:59], s[24:25], v[68:69] neg_lo:[1,0,0] neg_hi:[1,0,0]
	v_pk_add_f32 v[60:61], v[62:63], v[60:61]
	v_pk_fma_f32 v[62:63], v[58:59], s[2:3], v[142:143] neg_lo:[0,0,1] neg_hi:[0,0,1]
	;; [unrolled: 2-line block ×4, first 2 shown]
	v_mov_b32_e32 v84, v82
	v_mov_b32_e32 v63, v145
	;; [unrolled: 1-line block ×4, first 2 shown]
	v_pk_add_f32 v[70:71], v[88:89], v[70:71]
	v_pk_add_f32 v[74:75], v[84:85], v[74:75]
	v_pk_add_f32 v[60:61], v[62:63], v[60:61]
	v_pk_add_f32 v[24:25], v[26:27], v[24:25]
	v_pk_add_f32 v[12:13], v[14:15], v[12:13]
	ds_write2_b64 v0, v[70:71], v[74:75] offset0:4 offset1:5
	ds_write2_b64 v0, v[60:61], v[24:25] offset0:8 offset1:9
	ds_write_b64 v0, v[12:13] offset:80
.LBB0_17:
	s_or_b64 exec, exec, s[18:19]
	s_waitcnt lgkmcnt(0)
	s_barrier
	ds_read2_b64 v[14:17], v90 offset1:22
	ds_read2_b64 v[22:25], v90 offset0:44 offset1:66
	ds_read2_b64 v[26:29], v90 offset0:88 offset1:110
	ds_read_b64 v[50:51], v90 offset:1056
	v_mov_b32_e32 v55, v10
	v_mov_b32_e32 v54, v4
	s_waitcnt lgkmcnt(2)
	v_pk_mul_f32 v[32:33], v[10:11], v[22:23]
	s_waitcnt lgkmcnt(1)
	v_mul_f32_e32 v49, v35, v28
	v_mul_f32_e32 v53, v1, v29
	v_mov_b32_e32 v48, v32
	v_mov_b32_e32 v52, v33
	v_pk_mul_f32 v[30:31], v[8:9], v[16:17] op_sel:[0,1] op_sel_hi:[1,0]
	v_pk_add_f32 v[32:33], v[48:49], v[52:53]
	s_waitcnt lgkmcnt(0)
	v_pk_mul_f32 v[48:49], v[2:3], v[50:51] op_sel:[0,1] op_sel_hi:[1,0]
	v_mov_b32_e32 v52, v30
	v_mov_b32_e32 v53, v48
	;; [unrolled: 1-line block ×6, first 2 shown]
	v_pk_add_f32 v[30:31], v[52:53], v[48:49] neg_lo:[0,1] neg_hi:[0,1]
	v_mov_b32_e32 v56, v24
	v_mov_b32_e32 v57, v23
	v_pk_mul_f32 v[10:11], v[10:11], v[58:59]
	v_mov_b32_e32 v18, v17
	v_mov_b32_e32 v7, v30
	v_pk_fma_f32 v[22:23], v[4:5], v[56:57], v[10:11]
	v_pk_fma_f32 v[10:11], v[54:55], v[56:57], v[10:11] neg_lo:[0,0,1] neg_hi:[0,0,1]
	v_mov_b32_e32 v55, v4
	v_mov_b32_e32 v4, v9
	;; [unrolled: 1-line block ×3, first 2 shown]
	v_pk_add_f32 v[48:49], v[6:7], v[30:31]
	v_mov_b32_e32 v54, v8
	v_mov_b32_e32 v17, v25
	v_pk_mul_f32 v[4:5], v[4:5], v[18:19]
	v_mov_b32_e32 v7, v1
	v_mov_b32_e32 v18, v26
	v_mov_b32_e32 v19, v28
	v_pk_fma_f32 v[8:9], v[54:55], v[16:17], v[4:5]
	v_pk_fma_f32 v[4:5], v[54:55], v[16:17], v[4:5] neg_lo:[0,0,1] neg_hi:[0,0,1]
	v_mov_b32_e32 v16, v27
	v_mov_b32_e32 v17, v29
	v_pk_mul_f32 v[18:19], v[6:7], v[18:19]
	v_mov_b32_e32 v0, v51
	v_pk_fma_f32 v[24:25], v[34:35], v[16:17], v[18:19]
	v_pk_fma_f32 v[16:17], v[34:35], v[16:17], v[18:19] neg_lo:[0,0,1] neg_hi:[0,0,1]
	v_mov_b32_e32 v18, v2
	v_mov_b32_e32 v2, v3
	;; [unrolled: 1-line block ×6, first 2 shown]
	v_pk_mul_f32 v[0:1], v[2:3], v[0:1]
	v_mov_b32_e32 v48, v33
	v_pk_fma_f32 v[2:3], v[18:19], v[50:51], v[0:1]
	v_pk_fma_f32 v[0:1], v[18:19], v[50:51], v[0:1] neg_lo:[0,0,1] neg_hi:[0,0,1]
	v_mov_b32_e32 v23, v11
	v_mov_b32_e32 v9, v5
	;; [unrolled: 1-line block ×4, first 2 shown]
	v_pk_add_f32 v[52:53], v[32:33], v[48:49]
	v_mov_b32_e32 v6, v30
	v_mov_b32_e32 v7, v8
	;; [unrolled: 1-line block ×7, first 2 shown]
	v_pk_add_f32 v[16:17], v[22:23], v[24:25]
	v_pk_add_f32 v[2:3], v[8:9], v[2:3]
	v_mov_b32_e32 v0, v1
	v_mov_b32_e32 v1, v24
	;; [unrolled: 1-line block ×4, first 2 shown]
	v_pk_add_f32 v[6:7], v[6:7], v[18:19] neg_lo:[0,1] neg_hi:[0,1]
	v_pk_add_f32 v[10:11], v[10:11], v[32:33] neg_lo:[0,1] neg_hi:[0,1]
	;; [unrolled: 1-line block ×3, first 2 shown]
	v_mov_b32_e32 v53, v17
	v_mov_b32_e32 v48, v2
	;; [unrolled: 1-line block ×6, first 2 shown]
	s_mov_b32 s16, 0xbeae86e6
	v_pk_add_f32 v[4:5], v[52:53], v[48:49]
	v_pk_add_f32 v[8:9], v[8:9], v[18:19] neg_lo:[0,1] neg_hi:[0,1]
	v_pk_add_f32 v[18:19], v[2:3], v[16:17] neg_lo:[0,1] neg_hi:[0,1]
	v_mov_b32_e32 v24, v0
	v_mov_b32_e32 v25, v7
	;; [unrolled: 1-line block ×5, first 2 shown]
	s_mov_b32 s10, 0x3d64c772
	s_mov_b32 s17, 0x3f08b237
	v_pk_add_f32 v[22:23], v[0:1], v[10:11]
	v_pk_add_f32 v[24:25], v[24:25], v[26:27] neg_lo:[0,1] neg_hi:[0,1]
	v_mov_b32_e32 v26, v6
	v_mov_b32_e32 v1, v11
	v_pk_add_f32 v[2:3], v[16:17], v[4:5]
	s_mov_b32 s11, 0x3f4a47b2
	s_mov_b32 s18, s17
	;; [unrolled: 1-line block ×3, first 2 shown]
	v_pk_add_f32 v[0:1], v[26:27], v[0:1] neg_lo:[0,1] neg_hi:[0,1]
	v_pk_add_f32 v[16:17], v[14:15], v[2:3]
	s_mov_b32 s2, 0xbf955555
	v_pk_mul_f32 v[8:9], v[8:9], s[10:11]
	s_mov_b32 s14, s11
	s_mov_b32 s15, s10
	v_pk_mul_f32 v[24:25], v[24:25], s[18:19]
	v_pk_add_f32 v[4:5], v[22:23], v[6:7]
	s_mov_b32 s10, 0xbee1c552
	v_pk_mul_f32 v[26:27], v[0:1], s[16:17]
	v_pk_fma_f32 v[2:3], v[2:3], s[2:3], v[16:17] op_sel_hi:[1,0,1]
	v_pk_fma_f32 v[14:15], v[18:19], s[14:15], v[8:9]
	v_pk_fma_f32 v[0:1], v[0:1], s[16:17], v[24:25]
	v_pk_add_f32 v[14:15], v[14:15], v[2:3]
	v_pk_fma_f32 v[0:1], v[4:5], s[10:11], v[0:1] op_sel_hi:[1,0,1]
	v_pk_mul_f32 v[22:23], v[18:19], s[14:15]
	v_pk_add_f32 v[18:19], v[14:15], v[0:1] neg_lo:[0,1] neg_hi:[0,1]
	v_pk_add_f32 v[14:15], v[14:15], v[0:1]
	v_mov_b32_e32 v1, v19
	v_mov_b32_e32 v0, v14
	s_barrier
	ds_write2_b64 v91, v[16:17], v[0:1] offset1:11
	v_pk_add_f32 v[0:1], v[52:53], v[48:49] neg_lo:[0,1] neg_hi:[0,1]
	v_pk_add_f32 v[6:7], v[10:11], v[6:7] neg_lo:[0,1] neg_hi:[0,1]
	s_mov_b32 s2, 0x3f3bfb3b
	s_mov_b32 s14, 0xbf5ff5aa
	v_mov_b32_e32 v10, v22
	v_mov_b32_e32 v11, v9
	;; [unrolled: 1-line block ×6, first 2 shown]
	v_pk_fma_f32 v[10:11], v[0:1], s[2:3], v[10:11] op_sel_hi:[1,0,1] neg_lo:[1,0,1] neg_hi:[1,0,1]
	v_pk_fma_f32 v[16:17], v[6:7], s[14:15], v[16:17] op_sel_hi:[1,0,1] neg_lo:[1,0,1] neg_hi:[1,0,1]
	;; [unrolled: 1-line block ×4, first 2 shown]
	v_pk_add_f32 v[10:11], v[10:11], v[2:3]
	v_pk_fma_f32 v[16:17], v[4:5], s[10:11], v[16:17] op_sel_hi:[1,0,1]
	v_pk_add_f32 v[0:1], v[0:1], v[2:3]
	v_pk_fma_f32 v[2:3], v[4:5], s[10:11], v[6:7] op_sel_hi:[1,0,1]
	v_pk_add_f32 v[28:29], v[10:11], v[16:17]
	v_pk_add_f32 v[10:11], v[10:11], v[16:17] neg_lo:[0,1] neg_hi:[0,1]
	v_pk_add_f32 v[4:5], v[0:1], v[2:3] neg_lo:[0,1] neg_hi:[0,1]
	v_pk_add_f32 v[0:1], v[0:1], v[2:3]
	v_mov_b32_e32 v16, v28
	v_mov_b32_e32 v17, v11
	v_mov_b32_e32 v2, v4
	v_mov_b32_e32 v3, v1
	v_mov_b32_e32 v1, v5
	v_mov_b32_e32 v11, v29
	v_mov_b32_e32 v19, v15
	ds_write2_b64 v91, v[16:17], v[2:3] offset0:22 offset1:33
	ds_write2_b64 v91, v[0:1], v[10:11] offset0:44 offset1:55
	ds_write_b64 v91, v[18:19] offset:528
	s_waitcnt lgkmcnt(0)
	s_barrier
	ds_read2_b64 v[8:11], v90 offset1:22
	ds_read2_b64 v[0:3], v90 offset0:44 offset1:77
	ds_read2_b64 v[4:7], v90 offset0:99 offset1:121
	v_mov_b32_e32 v12, v44
	v_mov_b32_e32 v13, v44
	v_mov_b32_e32 v44, v45
	v_mov_b32_e32 v16, v46
	v_mov_b32_e32 v17, v46
	v_mov_b32_e32 v46, v47
	v_add_u32_e32 v14, 0x160, v92
	s_and_saveexec_b64 s[2:3], s[0:1]
	s_cbranch_execz .LBB0_19
; %bb.18:
	ds_read2_b64 v[18:21], v90 offset0:66 offset1:143
	s_waitcnt lgkmcnt(0)
	v_mov_b32_e32 v15, v19
.LBB0_19:
	s_or_b64 exec, exec, s[2:3]
	s_waitcnt lgkmcnt(1)
	v_pk_mul_f32 v[22:23], v[44:45], v[2:3]
	s_waitcnt lgkmcnt(0)
	v_pk_mul_f32 v[24:25], v[42:43], v[4:5] op_sel:[1,0]
	v_pk_fma_f32 v[28:29], v[12:13], v[2:3], v[22:23] op_sel:[0,0,1] op_sel_hi:[1,1,0]
	v_pk_fma_f32 v[2:3], v[12:13], v[2:3], v[22:23] op_sel:[0,0,1] op_sel_hi:[1,1,0] neg_lo:[0,0,1] neg_hi:[0,0,1]
	v_pk_fma_f32 v[12:13], v[42:43], v[4:5], v[24:25] op_sel:[0,0,1] op_sel_hi:[1,1,0]
	v_pk_fma_f32 v[4:5], v[42:43], v[4:5], v[24:25] op_sel:[0,0,1] op_sel_hi:[0,1,0] neg_lo:[0,0,1] neg_hi:[0,0,1]
	v_mov_b32_e32 v29, v3
	v_mov_b32_e32 v13, v5
	v_pk_add_f32 v[2:3], v[8:9], v[28:29] neg_lo:[0,1] neg_hi:[0,1]
	v_pk_add_f32 v[4:5], v[10:11], v[12:13] neg_lo:[0,1] neg_hi:[0,1]
	v_pk_mul_f32 v[26:27], v[46:47], v[6:7]
	v_pk_fma_f32 v[8:9], v[8:9], 2.0, v[2:3] op_sel_hi:[1,0,1] neg_lo:[0,0,1] neg_hi:[0,0,1]
	v_pk_fma_f32 v[10:11], v[10:11], 2.0, v[4:5] op_sel_hi:[1,0,1] neg_lo:[0,0,1] neg_hi:[0,0,1]
	ds_write2_b64 v37, v[8:9], v[10:11] offset1:22
	ds_write_b64 v37, v[4:5] offset:792
	v_pk_fma_f32 v[4:5], v[16:17], v[6:7], v[26:27] op_sel:[0,0,1] op_sel_hi:[1,1,0]
	v_pk_fma_f32 v[6:7], v[16:17], v[6:7], v[26:27] op_sel:[0,0,1] op_sel_hi:[1,1,0] neg_lo:[0,0,1] neg_hi:[0,0,1]
	s_nop 0
	v_mov_b32_e32 v5, v7
	v_pk_add_f32 v[4:5], v[0:1], v[4:5] neg_lo:[0,1] neg_hi:[0,1]
	s_nop 0
	v_pk_fma_f32 v[0:1], v[0:1], 2.0, v[4:5] op_sel_hi:[1,0,1] neg_lo:[0,0,1] neg_hi:[0,0,1]
	ds_write2_b64 v37, v[0:1], v[2:3] offset0:44 offset1:77
	ds_write_b64 v14, v[4:5] offset:616
	s_and_saveexec_b64 s[2:3], s[0:1]
	s_cbranch_execz .LBB0_21
; %bb.20:
	v_pk_mul_f32 v[0:1], v[40:41], v[20:21] op_sel:[0,1]
	v_mov_b32_e32 v19, v15
	v_pk_fma_f32 v[2:3], v[40:41], v[20:21], v[0:1] op_sel:[0,0,1] op_sel_hi:[1,1,0]
	v_pk_fma_f32 v[0:1], v[40:41], v[20:21], v[0:1] op_sel:[0,0,1] op_sel_hi:[1,0,0] neg_lo:[1,0,0] neg_hi:[1,0,0]
	s_nop 0
	v_mov_b32_e32 v3, v1
	v_pk_add_f32 v[0:1], v[18:19], v[2:3] neg_lo:[0,1] neg_hi:[0,1]
	s_nop 0
	v_pk_fma_f32 v[2:3], v[18:19], 2.0, v[0:1] op_sel_hi:[1,0,1] neg_lo:[0,0,1] neg_hi:[0,0,1]
	ds_write2_b64 v37, v[2:3], v[0:1] offset0:66 offset1:143
.LBB0_21:
	s_or_b64 exec, exec, s[2:3]
	s_waitcnt lgkmcnt(0)
	s_barrier
	s_and_b64 exec, exec, vcc
	s_cbranch_execz .LBB0_23
; %bb.22:
	global_load_dwordx2 v[8:9], v39, s[8:9]
	global_load_dwordx2 v[10:11], v39, s[8:9] offset:112
	global_load_dwordx2 v[12:13], v39, s[8:9] offset:224
	;; [unrolled: 1-line block ×4, first 2 shown]
	ds_read_b64 v[22:23], v37
	global_load_dwordx2 v[26:27], v39, s[8:9] offset:560
	global_load_dwordx2 v[28:29], v39, s[8:9] offset:672
	global_load_dwordx2 v[30:31], v39, s[8:9] offset:784
	v_lshl_add_u32 v37, v134, 3, v39
	ds_read2_b64 v[0:3], v37 offset0:14 offset1:28
	ds_read2_b64 v[4:7], v37 offset0:42 offset1:56
	v_mad_u64_u32 v[20:21], s[0:1], s6, v38, 0
	v_mad_u64_u32 v[24:25], s[2:3], s4, v36, 0
	v_mov_b32_e32 v32, v21
	v_mov_b32_e32 v34, v25
	v_mad_u64_u32 v[32:33], s[6:7], s7, v38, v[32:33]
	v_mov_b32_e32 v16, s12
	v_mov_b32_e32 v17, s13
	;; [unrolled: 3-line block ×3, first 2 shown]
	v_lshl_add_u64 v[16:17], v[20:21], 3, v[16:17]
	v_mov_b32_e32 v42, 0x70
	v_lshl_add_u64 v[20:21], v[24:25], 3, v[16:17]
	s_mul_i32 s2, s5, 0x70
	v_mad_u64_u32 v[24:25], s[6:7], s4, v42, v[20:21]
	s_mov_b32 s0, 0x606a63be
	v_add_u32_e32 v25, s2, v25
	s_mov_b32 s1, 0x3f7a98ef
	v_mad_u64_u32 v[32:33], s[6:7], s4, v42, v[24:25]
	v_add_u32_e32 v33, s2, v33
	v_mad_u64_u32 v[34:35], s[6:7], s4, v42, v[32:33]
	v_add_u32_e32 v35, s2, v35
	s_mul_i32 s3, s5, 0xe0
	s_waitcnt vmcnt(7) lgkmcnt(2)
	v_mul_f32_e32 v38, v23, v9
	s_waitcnt vmcnt(6) lgkmcnt(1)
	v_mul_f32_e32 v40, v1, v11
	s_waitcnt vmcnt(5)
	v_mul_f32_e32 v41, v3, v13
	v_mul_f32_e32 v9, v22, v9
	;; [unrolled: 1-line block ×3, first 2 shown]
	s_waitcnt vmcnt(4) lgkmcnt(0)
	v_mul_f32_e32 v43, v5, v15
	v_mul_f32_e32 v15, v4, v15
	v_fmac_f32_e32 v40, v0, v10
	v_fmac_f32_e32 v41, v2, v12
	;; [unrolled: 1-line block ×3, first 2 shown]
	v_fma_f32 v8, v8, v23, -v9
	v_fma_f32 v9, v10, v1, -v11
	v_fmac_f32_e32 v43, v4, v14
	v_fma_f32 v22, v14, v5, -v15
	v_cvt_f64_f32_e32 v[4:5], v40
	v_cvt_f64_f32_e32 v[10:11], v41
	global_load_dwordx2 v[40:41], v39, s[8:9] offset:896
	v_mul_f32_e32 v13, v2, v13
	v_fma_f32 v12, v12, v3, -v13
	v_cvt_f64_f32_e32 v[0:1], v38
	v_cvt_f64_f32_e32 v[2:3], v8
	;; [unrolled: 1-line block ×6, first 2 shown]
	v_mul_f64 v[0:1], v[0:1], s[0:1]
	v_mul_f64 v[2:3], v[2:3], s[0:1]
	;; [unrolled: 1-line block ×8, first 2 shown]
	v_cvt_f32_f64_e32 v0, v[0:1]
	v_cvt_f32_f64_e32 v1, v[2:3]
	;; [unrolled: 1-line block ×8, first 2 shown]
	global_store_dwordx2 v[20:21], v[0:1], off
	global_store_dwordx2 v[24:25], v[2:3], off
	;; [unrolled: 1-line block ×4, first 2 shown]
	s_waitcnt vmcnt(8)
	v_mul_f32_e32 v0, v7, v19
	v_fmac_f32_e32 v0, v6, v18
	v_cvt_f64_f32_e32 v[0:1], v0
	v_mul_f64 v[0:1], v[0:1], s[0:1]
	v_cvt_f32_f64_e32 v8, v[0:1]
	v_mul_f32_e32 v0, v6, v19
	global_load_dwordx2 v[4:5], v39, s[8:9] offset:1008
	v_fma_f32 v0, v18, v7, -v0
	v_cvt_f64_f32_e32 v[0:1], v0
	v_mul_f64 v[0:1], v[0:1], s[0:1]
	v_mad_u64_u32 v[6:7], s[6:7], s4, v42, v[34:35]
	v_cvt_f32_f64_e32 v9, v[0:1]
	v_add_u32_e32 v7, s2, v7
	global_store_dwordx2 v[6:7], v[8:9], off
	global_load_dwordx2 v[8:9], v39, s[8:9] offset:1120
	ds_read2_b64 v[0:3], v37 offset0:70 offset1:84
	v_mad_u64_u32 v[6:7], s[6:7], s4, v42, v[6:7]
	v_add_u32_e32 v7, s2, v7
	v_or_b32_e32 v15, 0x70, v36
	s_waitcnt vmcnt(10) lgkmcnt(0)
	v_mul_f32_e32 v10, v1, v27
	v_fmac_f32_e32 v10, v0, v26
	v_mul_f32_e32 v0, v0, v27
	v_fma_f32 v0, v26, v1, -v0
	v_cvt_f64_f32_e32 v[10:11], v10
	v_cvt_f64_f32_e32 v[0:1], v0
	v_mul_f64 v[10:11], v[10:11], s[0:1]
	v_mul_f64 v[0:1], v[0:1], s[0:1]
	v_cvt_f32_f64_e32 v10, v[10:11]
	v_cvt_f32_f64_e32 v11, v[0:1]
	s_waitcnt vmcnt(9)
	v_mul_f32_e32 v0, v3, v29
	v_fmac_f32_e32 v0, v2, v28
	v_cvt_f64_f32_e32 v[0:1], v0
	v_mul_f64 v[0:1], v[0:1], s[0:1]
	global_store_dwordx2 v[6:7], v[10:11], off
	v_cvt_f32_f64_e32 v10, v[0:1]
	v_mul_f32_e32 v0, v2, v29
	v_fma_f32 v0, v28, v3, -v0
	v_cvt_f64_f32_e32 v[0:1], v0
	v_mul_f64 v[0:1], v[0:1], s[0:1]
	v_cvt_f32_f64_e32 v11, v[0:1]
	ds_read2_b64 v[0:3], v37 offset0:98 offset1:112
	v_mad_u64_u32 v[6:7], s[6:7], s4, v42, v[6:7]
	v_add_u32_e32 v7, s2, v7
	global_store_dwordx2 v[6:7], v[10:11], off
	s_waitcnt vmcnt(10) lgkmcnt(0)
	v_mul_f32_e32 v10, v1, v31
	v_fmac_f32_e32 v10, v0, v30
	v_mul_f32_e32 v0, v0, v31
	v_fma_f32 v0, v30, v1, -v0
	v_cvt_f64_f32_e32 v[10:11], v10
	v_cvt_f64_f32_e32 v[0:1], v0
	v_mul_f64 v[10:11], v[10:11], s[0:1]
	v_mul_f64 v[0:1], v[0:1], s[0:1]
	v_cvt_f32_f64_e32 v10, v[10:11]
	v_cvt_f32_f64_e32 v11, v[0:1]
	s_waitcnt vmcnt(9)
	v_mul_f32_e32 v0, v3, v41
	v_fmac_f32_e32 v0, v2, v40
	v_mad_u64_u32 v[6:7], s[6:7], s4, v42, v[6:7]
	v_cvt_f64_f32_e32 v[0:1], v0
	v_add_u32_e32 v7, s2, v7
	v_mul_f64 v[0:1], v[0:1], s[0:1]
	global_store_dwordx2 v[6:7], v[10:11], off
	v_cvt_f32_f64_e32 v10, v[0:1]
	v_mul_f32_e32 v0, v2, v41
	v_fma_f32 v0, v40, v3, -v0
	v_cvt_f64_f32_e32 v[0:1], v0
	v_mul_f64 v[0:1], v[0:1], s[0:1]
	v_cvt_f32_f64_e32 v11, v[0:1]
	v_mad_u64_u32 v[12:13], s[6:7], s4, v15, 0
	ds_read2_b64 v[0:3], v37 offset0:126 offset1:140
	v_mov_b32_e32 v14, v13
	v_mad_u64_u32 v[14:15], s[6:7], s5, v15, v[14:15]
	v_mov_b32_e32 v13, v14
	v_lshl_add_u64 v[12:13], v[12:13], 3, v[16:17]
	global_store_dwordx2 v[12:13], v[10:11], off
	s_waitcnt vmcnt(6) lgkmcnt(0)
	v_mul_f32_e32 v10, v1, v5
	v_fmac_f32_e32 v10, v0, v4
	v_mul_f32_e32 v0, v0, v5
	v_fma_f32 v0, v4, v1, -v0
	v_cvt_f64_f32_e32 v[10:11], v10
	v_cvt_f64_f32_e32 v[0:1], v0
	v_mul_f64 v[10:11], v[10:11], s[0:1]
	v_mul_f64 v[0:1], v[0:1], s[0:1]
	v_cvt_f32_f64_e32 v10, v[10:11]
	s_waitcnt vmcnt(4)
	v_mul_f32_e32 v4, v3, v9
	v_cvt_f32_f64_e32 v11, v[0:1]
	v_mov_b32_e32 v0, 0xe0
	v_fmac_f32_e32 v4, v2, v8
	v_mul_f32_e32 v2, v2, v9
	v_mad_u64_u32 v[0:1], s[6:7], s4, v0, v[6:7]
	v_fma_f32 v2, v8, v3, -v2
	v_add_u32_e32 v1, s3, v1
	v_cvt_f64_f32_e32 v[4:5], v4
	v_cvt_f64_f32_e32 v[2:3], v2
	global_store_dwordx2 v[0:1], v[10:11], off
	v_mul_f64 v[4:5], v[4:5], s[0:1]
	v_mul_f64 v[2:3], v[2:3], s[0:1]
	v_mad_u64_u32 v[0:1], s[0:1], s4, v42, v[0:1]
	v_cvt_f32_f64_e32 v4, v[4:5]
	v_cvt_f32_f64_e32 v5, v[2:3]
	v_add_u32_e32 v1, s2, v1
	global_store_dwordx2 v[0:1], v[4:5], off
.LBB0_23:
	s_endpgm
	.section	.rodata,"a",@progbits
	.p2align	6, 0x0
	.amdhsa_kernel bluestein_single_fwd_len154_dim1_sp_op_CI_CI
		.amdhsa_group_segment_fixed_size 6160
		.amdhsa_private_segment_fixed_size 0
		.amdhsa_kernarg_size 104
		.amdhsa_user_sgpr_count 2
		.amdhsa_user_sgpr_dispatch_ptr 0
		.amdhsa_user_sgpr_queue_ptr 0
		.amdhsa_user_sgpr_kernarg_segment_ptr 1
		.amdhsa_user_sgpr_dispatch_id 0
		.amdhsa_user_sgpr_kernarg_preload_length 0
		.amdhsa_user_sgpr_kernarg_preload_offset 0
		.amdhsa_user_sgpr_private_segment_size 0
		.amdhsa_uses_dynamic_stack 0
		.amdhsa_enable_private_segment 0
		.amdhsa_system_sgpr_workgroup_id_x 1
		.amdhsa_system_sgpr_workgroup_id_y 0
		.amdhsa_system_sgpr_workgroup_id_z 0
		.amdhsa_system_sgpr_workgroup_info 0
		.amdhsa_system_vgpr_workitem_id 0
		.amdhsa_next_free_vgpr 148
		.amdhsa_next_free_sgpr 46
		.amdhsa_accum_offset 148
		.amdhsa_reserve_vcc 1
		.amdhsa_float_round_mode_32 0
		.amdhsa_float_round_mode_16_64 0
		.amdhsa_float_denorm_mode_32 3
		.amdhsa_float_denorm_mode_16_64 3
		.amdhsa_dx10_clamp 1
		.amdhsa_ieee_mode 1
		.amdhsa_fp16_overflow 0
		.amdhsa_tg_split 0
		.amdhsa_exception_fp_ieee_invalid_op 0
		.amdhsa_exception_fp_denorm_src 0
		.amdhsa_exception_fp_ieee_div_zero 0
		.amdhsa_exception_fp_ieee_overflow 0
		.amdhsa_exception_fp_ieee_underflow 0
		.amdhsa_exception_fp_ieee_inexact 0
		.amdhsa_exception_int_div_zero 0
	.end_amdhsa_kernel
	.text
.Lfunc_end0:
	.size	bluestein_single_fwd_len154_dim1_sp_op_CI_CI, .Lfunc_end0-bluestein_single_fwd_len154_dim1_sp_op_CI_CI
                                        ; -- End function
	.section	.AMDGPU.csdata,"",@progbits
; Kernel info:
; codeLenInByte = 8912
; NumSgprs: 52
; NumVgprs: 148
; NumAgprs: 0
; TotalNumVgprs: 148
; ScratchSize: 0
; MemoryBound: 0
; FloatMode: 240
; IeeeMode: 1
; LDSByteSize: 6160 bytes/workgroup (compile time only)
; SGPRBlocks: 6
; VGPRBlocks: 18
; NumSGPRsForWavesPerEU: 52
; NumVGPRsForWavesPerEU: 148
; AccumOffset: 148
; Occupancy: 3
; WaveLimiterHint : 1
; COMPUTE_PGM_RSRC2:SCRATCH_EN: 0
; COMPUTE_PGM_RSRC2:USER_SGPR: 2
; COMPUTE_PGM_RSRC2:TRAP_HANDLER: 0
; COMPUTE_PGM_RSRC2:TGID_X_EN: 1
; COMPUTE_PGM_RSRC2:TGID_Y_EN: 0
; COMPUTE_PGM_RSRC2:TGID_Z_EN: 0
; COMPUTE_PGM_RSRC2:TIDIG_COMP_CNT: 0
; COMPUTE_PGM_RSRC3_GFX90A:ACCUM_OFFSET: 36
; COMPUTE_PGM_RSRC3_GFX90A:TG_SPLIT: 0
	.text
	.p2alignl 6, 3212836864
	.fill 256, 4, 3212836864
	.type	__hip_cuid_c765bfff92834ea4,@object ; @__hip_cuid_c765bfff92834ea4
	.section	.bss,"aw",@nobits
	.globl	__hip_cuid_c765bfff92834ea4
__hip_cuid_c765bfff92834ea4:
	.byte	0                               ; 0x0
	.size	__hip_cuid_c765bfff92834ea4, 1

	.ident	"AMD clang version 19.0.0git (https://github.com/RadeonOpenCompute/llvm-project roc-6.4.0 25133 c7fe45cf4b819c5991fe208aaa96edf142730f1d)"
	.section	".note.GNU-stack","",@progbits
	.addrsig
	.addrsig_sym __hip_cuid_c765bfff92834ea4
	.amdgpu_metadata
---
amdhsa.kernels:
  - .agpr_count:     0
    .args:
      - .actual_access:  read_only
        .address_space:  global
        .offset:         0
        .size:           8
        .value_kind:     global_buffer
      - .actual_access:  read_only
        .address_space:  global
        .offset:         8
        .size:           8
        .value_kind:     global_buffer
      - .actual_access:  read_only
        .address_space:  global
        .offset:         16
        .size:           8
        .value_kind:     global_buffer
      - .actual_access:  read_only
        .address_space:  global
        .offset:         24
        .size:           8
        .value_kind:     global_buffer
      - .actual_access:  read_only
        .address_space:  global
        .offset:         32
        .size:           8
        .value_kind:     global_buffer
      - .offset:         40
        .size:           8
        .value_kind:     by_value
      - .address_space:  global
        .offset:         48
        .size:           8
        .value_kind:     global_buffer
      - .address_space:  global
        .offset:         56
        .size:           8
        .value_kind:     global_buffer
      - .address_space:  global
        .offset:         64
        .size:           8
        .value_kind:     global_buffer
      - .address_space:  global
        .offset:         72
        .size:           8
        .value_kind:     global_buffer
      - .offset:         80
        .size:           4
        .value_kind:     by_value
      - .address_space:  global
        .offset:         88
        .size:           8
        .value_kind:     global_buffer
      - .address_space:  global
        .offset:         96
        .size:           8
        .value_kind:     global_buffer
    .group_segment_fixed_size: 6160
    .kernarg_segment_align: 8
    .kernarg_segment_size: 104
    .language:       OpenCL C
    .language_version:
      - 2
      - 0
    .max_flat_workgroup_size: 110
    .name:           bluestein_single_fwd_len154_dim1_sp_op_CI_CI
    .private_segment_fixed_size: 0
    .sgpr_count:     52
    .sgpr_spill_count: 0
    .symbol:         bluestein_single_fwd_len154_dim1_sp_op_CI_CI.kd
    .uniform_work_group_size: 1
    .uses_dynamic_stack: false
    .vgpr_count:     148
    .vgpr_spill_count: 0
    .wavefront_size: 64
amdhsa.target:   amdgcn-amd-amdhsa--gfx950
amdhsa.version:
  - 1
  - 2
...

	.end_amdgpu_metadata
